;; amdgpu-corpus repo=ROCm/rocFFT kind=compiled arch=gfx1201 opt=O3
	.text
	.amdgcn_target "amdgcn-amd-amdhsa--gfx1201"
	.amdhsa_code_object_version 6
	.protected	fft_rtc_fwd_len910_factors_13_2_7_5_wgs_182_tpt_91_sp_op_CI_CI_unitstride_sbrr_C2R_dirReg ; -- Begin function fft_rtc_fwd_len910_factors_13_2_7_5_wgs_182_tpt_91_sp_op_CI_CI_unitstride_sbrr_C2R_dirReg
	.globl	fft_rtc_fwd_len910_factors_13_2_7_5_wgs_182_tpt_91_sp_op_CI_CI_unitstride_sbrr_C2R_dirReg
	.p2align	8
	.type	fft_rtc_fwd_len910_factors_13_2_7_5_wgs_182_tpt_91_sp_op_CI_CI_unitstride_sbrr_C2R_dirReg,@function
fft_rtc_fwd_len910_factors_13_2_7_5_wgs_182_tpt_91_sp_op_CI_CI_unitstride_sbrr_C2R_dirReg: ; @fft_rtc_fwd_len910_factors_13_2_7_5_wgs_182_tpt_91_sp_op_CI_CI_unitstride_sbrr_C2R_dirReg
; %bb.0:
	s_clause 0x2
	s_load_b128 s[8:11], s[0:1], 0x0
	s_load_b128 s[4:7], s[0:1], 0x58
	;; [unrolled: 1-line block ×3, first 2 shown]
	v_mul_u32_u24_e32 v1, 0x2d1, v0
	v_mov_b32_e32 v3, 0
	s_delay_alu instid0(VALU_DEP_2) | instskip(SKIP_2) | instid1(VALU_DEP_4)
	v_lshrrev_b32_e32 v7, 16, v1
	v_mov_b32_e32 v1, 0
	v_mov_b32_e32 v2, 0
	;; [unrolled: 1-line block ×3, first 2 shown]
	s_delay_alu instid0(VALU_DEP_4) | instskip(SKIP_2) | instid1(VALU_DEP_1)
	v_lshl_add_u32 v5, ttmp9, 1, v7
	s_wait_kmcnt 0x0
	v_cmp_lt_u64_e64 s2, s[10:11], 2
	s_and_b32 vcc_lo, exec_lo, s2
	s_cbranch_vccnz .LBB0_8
; %bb.1:
	s_load_b64 s[2:3], s[0:1], 0x10
	v_mov_b32_e32 v1, 0
	v_mov_b32_e32 v2, 0
	s_add_nc_u64 s[16:17], s[14:15], 8
	s_add_nc_u64 s[18:19], s[12:13], 8
	s_mov_b64 s[20:21], 1
	s_delay_alu instid0(VALU_DEP_1)
	v_dual_mov_b32 v31, v2 :: v_dual_mov_b32 v30, v1
	s_wait_kmcnt 0x0
	s_add_nc_u64 s[22:23], s[2:3], 8
	s_mov_b32 s3, 0
.LBB0_2:                                ; =>This Inner Loop Header: Depth=1
	s_load_b64 s[24:25], s[22:23], 0x0
                                        ; implicit-def: $vgpr34_vgpr35
	s_mov_b32 s2, exec_lo
	s_wait_kmcnt 0x0
	v_or_b32_e32 v4, s25, v6
	s_delay_alu instid0(VALU_DEP_1)
	v_cmpx_ne_u64_e32 0, v[3:4]
	s_wait_alu 0xfffe
	s_xor_b32 s26, exec_lo, s2
	s_cbranch_execz .LBB0_4
; %bb.3:                                ;   in Loop: Header=BB0_2 Depth=1
	s_cvt_f32_u32 s2, s24
	s_cvt_f32_u32 s27, s25
	s_sub_nc_u64 s[30:31], 0, s[24:25]
	s_wait_alu 0xfffe
	s_delay_alu instid0(SALU_CYCLE_1) | instskip(SKIP_1) | instid1(SALU_CYCLE_2)
	s_fmamk_f32 s2, s27, 0x4f800000, s2
	s_wait_alu 0xfffe
	v_s_rcp_f32 s2, s2
	s_delay_alu instid0(TRANS32_DEP_1) | instskip(SKIP_1) | instid1(SALU_CYCLE_2)
	s_mul_f32 s2, s2, 0x5f7ffffc
	s_wait_alu 0xfffe
	s_mul_f32 s27, s2, 0x2f800000
	s_wait_alu 0xfffe
	s_delay_alu instid0(SALU_CYCLE_2) | instskip(SKIP_1) | instid1(SALU_CYCLE_2)
	s_trunc_f32 s27, s27
	s_wait_alu 0xfffe
	s_fmamk_f32 s2, s27, 0xcf800000, s2
	s_cvt_u32_f32 s29, s27
	s_wait_alu 0xfffe
	s_delay_alu instid0(SALU_CYCLE_1) | instskip(SKIP_1) | instid1(SALU_CYCLE_2)
	s_cvt_u32_f32 s28, s2
	s_wait_alu 0xfffe
	s_mul_u64 s[34:35], s[30:31], s[28:29]
	s_wait_alu 0xfffe
	s_mul_hi_u32 s37, s28, s35
	s_mul_i32 s36, s28, s35
	s_mul_hi_u32 s2, s28, s34
	s_mul_i32 s33, s29, s34
	s_wait_alu 0xfffe
	s_add_nc_u64 s[36:37], s[2:3], s[36:37]
	s_mul_hi_u32 s27, s29, s34
	s_mul_hi_u32 s38, s29, s35
	s_add_co_u32 s2, s36, s33
	s_wait_alu 0xfffe
	s_add_co_ci_u32 s2, s37, s27
	s_mul_i32 s34, s29, s35
	s_add_co_ci_u32 s35, s38, 0
	s_wait_alu 0xfffe
	s_add_nc_u64 s[34:35], s[2:3], s[34:35]
	s_wait_alu 0xfffe
	v_add_co_u32 v4, s2, s28, s34
	s_delay_alu instid0(VALU_DEP_1) | instskip(SKIP_1) | instid1(VALU_DEP_1)
	s_cmp_lg_u32 s2, 0
	s_add_co_ci_u32 s29, s29, s35
	v_readfirstlane_b32 s28, v4
	s_wait_alu 0xfffe
	s_delay_alu instid0(VALU_DEP_1)
	s_mul_u64 s[30:31], s[30:31], s[28:29]
	s_wait_alu 0xfffe
	s_mul_hi_u32 s35, s28, s31
	s_mul_i32 s34, s28, s31
	s_mul_hi_u32 s2, s28, s30
	s_mul_i32 s33, s29, s30
	s_wait_alu 0xfffe
	s_add_nc_u64 s[34:35], s[2:3], s[34:35]
	s_mul_hi_u32 s27, s29, s30
	s_mul_hi_u32 s28, s29, s31
	s_wait_alu 0xfffe
	s_add_co_u32 s2, s34, s33
	s_add_co_ci_u32 s2, s35, s27
	s_mul_i32 s30, s29, s31
	s_add_co_ci_u32 s31, s28, 0
	s_wait_alu 0xfffe
	s_add_nc_u64 s[30:31], s[2:3], s[30:31]
	s_wait_alu 0xfffe
	v_add_co_u32 v4, s2, v4, s30
	s_delay_alu instid0(VALU_DEP_1) | instskip(SKIP_1) | instid1(VALU_DEP_1)
	s_cmp_lg_u32 s2, 0
	s_add_co_ci_u32 s2, s29, s31
	v_mul_hi_u32 v14, v5, v4
	s_wait_alu 0xfffe
	v_mad_co_u64_u32 v[8:9], null, v5, s2, 0
	v_mad_co_u64_u32 v[10:11], null, v6, v4, 0
	;; [unrolled: 1-line block ×3, first 2 shown]
	s_delay_alu instid0(VALU_DEP_3) | instskip(SKIP_1) | instid1(VALU_DEP_4)
	v_add_co_u32 v4, vcc_lo, v14, v8
	s_wait_alu 0xfffd
	v_add_co_ci_u32_e32 v8, vcc_lo, 0, v9, vcc_lo
	s_delay_alu instid0(VALU_DEP_2) | instskip(SKIP_1) | instid1(VALU_DEP_2)
	v_add_co_u32 v4, vcc_lo, v4, v10
	s_wait_alu 0xfffd
	v_add_co_ci_u32_e32 v4, vcc_lo, v8, v11, vcc_lo
	s_wait_alu 0xfffd
	v_add_co_ci_u32_e32 v8, vcc_lo, 0, v13, vcc_lo
	s_delay_alu instid0(VALU_DEP_2) | instskip(SKIP_1) | instid1(VALU_DEP_2)
	v_add_co_u32 v4, vcc_lo, v4, v12
	s_wait_alu 0xfffd
	v_add_co_ci_u32_e32 v10, vcc_lo, 0, v8, vcc_lo
	s_delay_alu instid0(VALU_DEP_2) | instskip(SKIP_1) | instid1(VALU_DEP_3)
	v_mul_lo_u32 v11, s25, v4
	v_mad_co_u64_u32 v[8:9], null, s24, v4, 0
	v_mul_lo_u32 v12, s24, v10
	s_delay_alu instid0(VALU_DEP_2) | instskip(NEXT) | instid1(VALU_DEP_2)
	v_sub_co_u32 v8, vcc_lo, v5, v8
	v_add3_u32 v9, v9, v12, v11
	s_delay_alu instid0(VALU_DEP_1) | instskip(SKIP_1) | instid1(VALU_DEP_1)
	v_sub_nc_u32_e32 v11, v6, v9
	s_wait_alu 0xfffd
	v_subrev_co_ci_u32_e64 v11, s2, s25, v11, vcc_lo
	v_add_co_u32 v12, s2, v4, 2
	s_wait_alu 0xf1ff
	v_add_co_ci_u32_e64 v13, s2, 0, v10, s2
	v_sub_co_u32 v14, s2, v8, s24
	v_sub_co_ci_u32_e32 v9, vcc_lo, v6, v9, vcc_lo
	s_wait_alu 0xf1ff
	v_subrev_co_ci_u32_e64 v11, s2, 0, v11, s2
	s_delay_alu instid0(VALU_DEP_3) | instskip(NEXT) | instid1(VALU_DEP_3)
	v_cmp_le_u32_e32 vcc_lo, s24, v14
	v_cmp_eq_u32_e64 s2, s25, v9
	s_wait_alu 0xfffd
	v_cndmask_b32_e64 v14, 0, -1, vcc_lo
	v_cmp_le_u32_e32 vcc_lo, s25, v11
	s_wait_alu 0xfffd
	v_cndmask_b32_e64 v15, 0, -1, vcc_lo
	v_cmp_le_u32_e32 vcc_lo, s24, v8
	;; [unrolled: 3-line block ×3, first 2 shown]
	s_wait_alu 0xfffd
	v_cndmask_b32_e64 v16, 0, -1, vcc_lo
	v_cmp_eq_u32_e32 vcc_lo, s25, v11
	s_wait_alu 0xf1ff
	s_delay_alu instid0(VALU_DEP_2)
	v_cndmask_b32_e64 v8, v16, v8, s2
	s_wait_alu 0xfffd
	v_cndmask_b32_e32 v11, v15, v14, vcc_lo
	v_add_co_u32 v14, vcc_lo, v4, 1
	s_wait_alu 0xfffd
	v_add_co_ci_u32_e32 v15, vcc_lo, 0, v10, vcc_lo
	s_delay_alu instid0(VALU_DEP_3) | instskip(SKIP_2) | instid1(VALU_DEP_3)
	v_cmp_ne_u32_e32 vcc_lo, 0, v11
	s_wait_alu 0xfffd
	v_cndmask_b32_e32 v11, v14, v12, vcc_lo
	v_cndmask_b32_e32 v9, v15, v13, vcc_lo
	v_cmp_ne_u32_e32 vcc_lo, 0, v8
	s_wait_alu 0xfffd
	s_delay_alu instid0(VALU_DEP_2)
	v_dual_cndmask_b32 v34, v4, v11 :: v_dual_cndmask_b32 v35, v10, v9
.LBB0_4:                                ;   in Loop: Header=BB0_2 Depth=1
	s_wait_alu 0xfffe
	s_and_not1_saveexec_b32 s2, s26
	s_cbranch_execz .LBB0_6
; %bb.5:                                ;   in Loop: Header=BB0_2 Depth=1
	v_cvt_f32_u32_e32 v4, s24
	s_sub_co_i32 s26, 0, s24
	v_mov_b32_e32 v35, v3
	s_delay_alu instid0(VALU_DEP_2) | instskip(NEXT) | instid1(TRANS32_DEP_1)
	v_rcp_iflag_f32_e32 v4, v4
	v_mul_f32_e32 v4, 0x4f7ffffe, v4
	s_delay_alu instid0(VALU_DEP_1) | instskip(SKIP_1) | instid1(VALU_DEP_1)
	v_cvt_u32_f32_e32 v4, v4
	s_wait_alu 0xfffe
	v_mul_lo_u32 v8, s26, v4
	s_delay_alu instid0(VALU_DEP_1) | instskip(NEXT) | instid1(VALU_DEP_1)
	v_mul_hi_u32 v8, v4, v8
	v_add_nc_u32_e32 v4, v4, v8
	s_delay_alu instid0(VALU_DEP_1) | instskip(NEXT) | instid1(VALU_DEP_1)
	v_mul_hi_u32 v4, v5, v4
	v_mul_lo_u32 v8, v4, s24
	s_delay_alu instid0(VALU_DEP_1) | instskip(NEXT) | instid1(VALU_DEP_1)
	v_sub_nc_u32_e32 v8, v5, v8
	v_subrev_nc_u32_e32 v10, s24, v8
	v_cmp_le_u32_e32 vcc_lo, s24, v8
	s_wait_alu 0xfffd
	s_delay_alu instid0(VALU_DEP_2) | instskip(NEXT) | instid1(VALU_DEP_1)
	v_dual_cndmask_b32 v8, v8, v10 :: v_dual_add_nc_u32 v9, 1, v4
	v_cndmask_b32_e32 v4, v4, v9, vcc_lo
	s_delay_alu instid0(VALU_DEP_2) | instskip(NEXT) | instid1(VALU_DEP_2)
	v_cmp_le_u32_e32 vcc_lo, s24, v8
	v_add_nc_u32_e32 v9, 1, v4
	s_wait_alu 0xfffd
	s_delay_alu instid0(VALU_DEP_1)
	v_cndmask_b32_e32 v34, v4, v9, vcc_lo
.LBB0_6:                                ;   in Loop: Header=BB0_2 Depth=1
	s_wait_alu 0xfffe
	s_or_b32 exec_lo, exec_lo, s2
	v_mul_lo_u32 v4, v35, s24
	s_delay_alu instid0(VALU_DEP_2)
	v_mul_lo_u32 v10, v34, s25
	s_load_b64 s[26:27], s[18:19], 0x0
	v_mad_co_u64_u32 v[8:9], null, v34, s24, 0
	s_load_b64 s[24:25], s[16:17], 0x0
	s_add_nc_u64 s[20:21], s[20:21], 1
	s_add_nc_u64 s[16:17], s[16:17], 8
	s_wait_alu 0xfffe
	v_cmp_ge_u64_e64 s2, s[20:21], s[10:11]
	s_add_nc_u64 s[18:19], s[18:19], 8
	s_add_nc_u64 s[22:23], s[22:23], 8
	v_add3_u32 v4, v9, v10, v4
	v_sub_co_u32 v5, vcc_lo, v5, v8
	s_wait_alu 0xfffd
	s_delay_alu instid0(VALU_DEP_2) | instskip(SKIP_2) | instid1(VALU_DEP_1)
	v_sub_co_ci_u32_e32 v4, vcc_lo, v6, v4, vcc_lo
	s_and_b32 vcc_lo, exec_lo, s2
	s_wait_kmcnt 0x0
	v_mul_lo_u32 v6, s26, v4
	v_mul_lo_u32 v8, s27, v5
	v_mad_co_u64_u32 v[1:2], null, s26, v5, v[1:2]
	v_mul_lo_u32 v4, s24, v4
	v_mul_lo_u32 v9, s25, v5
	v_mad_co_u64_u32 v[30:31], null, s24, v5, v[30:31]
	s_delay_alu instid0(VALU_DEP_4) | instskip(NEXT) | instid1(VALU_DEP_2)
	v_add3_u32 v2, v8, v2, v6
	v_add3_u32 v31, v9, v31, v4
	s_wait_alu 0xfffe
	s_cbranch_vccnz .LBB0_9
; %bb.7:                                ;   in Loop: Header=BB0_2 Depth=1
	v_dual_mov_b32 v5, v34 :: v_dual_mov_b32 v6, v35
	s_branch .LBB0_2
.LBB0_8:
	v_dual_mov_b32 v31, v2 :: v_dual_mov_b32 v30, v1
	v_dual_mov_b32 v35, v6 :: v_dual_mov_b32 v34, v5
.LBB0_9:
	s_load_b64 s[0:1], s[0:1], 0x28
	v_and_b32_e32 v4, 1, v7
	v_mul_hi_u32 v3, 0x2d02d03, v0
	s_lshl_b64 s[10:11], s[10:11], 3
                                        ; implicit-def: $vgpr32
	s_wait_alu 0xfffe
	s_add_nc_u64 s[2:3], s[14:15], s[10:11]
	s_wait_kmcnt 0x0
	v_cmp_gt_u64_e32 vcc_lo, s[0:1], v[34:35]
	v_cmp_le_u64_e64 s1, s[0:1], v[34:35]
	v_cmp_eq_u32_e64 s0, 1, v4
	s_delay_alu instid0(VALU_DEP_2) | instskip(NEXT) | instid1(SALU_CYCLE_1)
	s_and_saveexec_b32 s14, s1
	s_xor_b32 s1, exec_lo, s14
; %bb.10:
	v_mul_u32_u24_e32 v1, 0x5b, v3
                                        ; implicit-def: $vgpr3
	s_delay_alu instid0(VALU_DEP_1)
	v_sub_nc_u32_e32 v32, v0, v1
                                        ; implicit-def: $vgpr0
                                        ; implicit-def: $vgpr1_vgpr2
; %bb.11:
	s_wait_alu 0xfffe
	s_or_saveexec_b32 s1, s1
	s_load_b64 s[2:3], s[2:3], 0x0
	v_cndmask_b32_e64 v4, 0, 0x38f, s0
	s_delay_alu instid0(VALU_DEP_1)
	v_lshlrev_b32_e32 v42, 3, v4
	s_xor_b32 exec_lo, exec_lo, s1
	s_cbranch_execz .LBB0_15
; %bb.12:
	s_add_nc_u64 s[10:11], s[12:13], s[10:11]
	v_mul_u32_u24_e32 v3, 0x5b, v3
	s_load_b64 s[10:11], s[10:11], 0x0
	v_lshlrev_b64_e32 v[1:2], 3, v[1:2]
	s_delay_alu instid0(VALU_DEP_2) | instskip(NEXT) | instid1(VALU_DEP_1)
	v_sub_nc_u32_e32 v32, v0, v3
	v_lshlrev_b32_e32 v25, 3, v32
	s_wait_kmcnt 0x0
	v_mul_lo_u32 v7, s11, v34
	v_mul_lo_u32 v8, s10, v35
	v_mad_co_u64_u32 v[5:6], null, s10, v34, 0
	s_delay_alu instid0(VALU_DEP_1) | instskip(NEXT) | instid1(VALU_DEP_1)
	v_add3_u32 v6, v6, v8, v7
	v_lshlrev_b64_e32 v[5:6], 3, v[5:6]
	s_delay_alu instid0(VALU_DEP_1) | instskip(SKIP_1) | instid1(VALU_DEP_2)
	v_add_co_u32 v0, s0, s4, v5
	s_wait_alu 0xf1ff
	v_add_co_ci_u32_e64 v3, s0, s5, v6, s0
	s_mov_b32 s4, exec_lo
	s_delay_alu instid0(VALU_DEP_2) | instskip(SKIP_1) | instid1(VALU_DEP_2)
	v_add_co_u32 v0, s0, v0, v1
	s_wait_alu 0xf1ff
	v_add_co_ci_u32_e64 v1, s0, v3, v2, s0
	s_delay_alu instid0(VALU_DEP_2) | instskip(SKIP_1) | instid1(VALU_DEP_2)
	v_add_co_u32 v2, s0, v0, v25
	s_wait_alu 0xf1ff
	v_add_co_ci_u32_e64 v3, s0, 0, v1, s0
	s_clause 0x9
	global_load_b64 v[5:6], v[2:3], off
	global_load_b64 v[7:8], v[2:3], off offset:728
	global_load_b64 v[9:10], v[2:3], off offset:1456
	global_load_b64 v[11:12], v[2:3], off offset:2184
	global_load_b64 v[13:14], v[2:3], off offset:2912
	global_load_b64 v[15:16], v[2:3], off offset:3640
	global_load_b64 v[17:18], v[2:3], off offset:4368
	global_load_b64 v[19:20], v[2:3], off offset:5096
	global_load_b64 v[21:22], v[2:3], off offset:5824
	global_load_b64 v[23:24], v[2:3], off offset:6552
	v_add3_u32 v2, 0, v42, v25
	s_delay_alu instid0(VALU_DEP_1)
	v_add_nc_u32_e32 v3, 0x400, v2
	v_add_nc_u32_e32 v25, 0x800, v2
	;; [unrolled: 1-line block ×4, first 2 shown]
	s_wait_loadcnt 0x8
	ds_store_2addr_b64 v2, v[5:6], v[7:8] offset1:91
	s_wait_loadcnt 0x6
	ds_store_2addr_b64 v3, v[9:10], v[11:12] offset0:54 offset1:145
	s_wait_loadcnt 0x4
	ds_store_2addr_b64 v25, v[13:14], v[15:16] offset0:108 offset1:199
	;; [unrolled: 2-line block ×4, first 2 shown]
	v_cmpx_eq_u32_e32 0x5a, v32
	s_cbranch_execz .LBB0_14
; %bb.13:
	global_load_b64 v[0:1], v[0:1], off offset:7280
	v_mov_b32_e32 v32, 0x5a
	s_wait_loadcnt 0x0
	ds_store_b64 v2, v[0:1] offset:6560
.LBB0_14:
	s_wait_alu 0xfffe
	s_or_b32 exec_lo, exec_lo, s4
.LBB0_15:
	s_delay_alu instid0(SALU_CYCLE_1)
	s_or_b32 exec_lo, exec_lo, s1
	v_lshl_add_u32 v40, v4, 3, 0
	v_lshlrev_b32_e32 v0, 3, v32
	global_wb scope:SCOPE_SE
	s_wait_dscnt 0x0
	s_wait_kmcnt 0x0
	s_barrier_signal -1
	s_barrier_wait -1
	global_inv scope:SCOPE_SE
	v_add_nc_u32_e32 v41, v40, v0
	v_sub_nc_u32_e32 v5, v40, v0
	s_mov_b32 s1, exec_lo
                                        ; implicit-def: $vgpr2_vgpr3
	ds_load_b32 v6, v41
	ds_load_b32 v7, v5 offset:7280
	s_wait_dscnt 0x0
	v_dual_add_f32 v0, v7, v6 :: v_dual_sub_f32 v1, v6, v7
	v_cmpx_ne_u32_e32 0, v32
	s_wait_alu 0xfffe
	s_xor_b32 s1, exec_lo, s1
	s_cbranch_execz .LBB0_17
; %bb.16:
	v_dual_mov_b32 v33, 0 :: v_dual_add_f32 v8, v7, v6
	s_delay_alu instid0(VALU_DEP_1) | instskip(NEXT) | instid1(VALU_DEP_1)
	v_lshlrev_b64_e32 v[0:1], 3, v[32:33]
	v_add_co_u32 v0, s0, s8, v0
	s_wait_alu 0xf1ff
	s_delay_alu instid0(VALU_DEP_2)
	v_add_co_ci_u32_e64 v1, s0, s9, v1, s0
	global_load_b64 v[2:3], v[0:1], off offset:7176
	ds_load_b32 v0, v5 offset:7284
	ds_load_b32 v1, v41 offset:4
	s_wait_dscnt 0x0
	v_dual_sub_f32 v9, v6, v7 :: v_dual_add_f32 v10, v0, v1
	v_sub_f32_e32 v0, v1, v0
	s_wait_loadcnt 0x0
	s_delay_alu instid0(VALU_DEP_2) | instskip(NEXT) | instid1(VALU_DEP_2)
	v_fma_f32 v6, -v9, v3, v8
	v_fma_f32 v7, v10, v3, -v0
	v_fma_f32 v11, v9, v3, v8
	v_fma_f32 v1, v10, v3, v0
	s_delay_alu instid0(VALU_DEP_4) | instskip(NEXT) | instid1(VALU_DEP_4)
	v_fmac_f32_e32 v6, v2, v10
	v_fmac_f32_e32 v7, v9, v2
	s_delay_alu instid0(VALU_DEP_4) | instskip(NEXT) | instid1(VALU_DEP_4)
	v_fma_f32 v0, -v2, v10, v11
	v_dual_fmac_f32 v1, v9, v2 :: v_dual_mov_b32 v2, v32
	v_mov_b32_e32 v3, v33
	ds_store_b64 v5, v[6:7] offset:7280
.LBB0_17:
	s_wait_alu 0xfffe
	s_and_not1_saveexec_b32 s0, s1
	s_cbranch_execz .LBB0_19
; %bb.18:
	ds_load_b64 v[2:3], v40 offset:3640
	s_wait_dscnt 0x0
	v_dual_add_f32 v6, v2, v2 :: v_dual_mul_f32 v7, -2.0, v3
	v_mov_b32_e32 v2, 0
	v_mov_b32_e32 v3, 0
	ds_store_b64 v40, v[6:7] offset:3640
.LBB0_19:
	s_wait_alu 0xfffe
	s_or_b32 exec_lo, exec_lo, s0
	v_lshlrev_b64_e32 v[2:3], 3, v[2:3]
	s_add_nc_u64 s[0:1], s[8:9], 0x1c08
	v_lshl_add_u32 v47, v32, 3, 0
	s_wait_alu 0xfffe
	s_delay_alu instid0(VALU_DEP_2)
	v_add_co_u32 v2, s0, s0, v2
	s_wait_alu 0xf1ff
	v_add_co_ci_u32_e64 v3, s0, s1, v3, s0
	v_lshl_add_u32 v33, v4, 3, v47
	s_mov_b32 s1, exec_lo
	s_clause 0x3
	global_load_b64 v[6:7], v[2:3], off offset:728
	global_load_b64 v[8:9], v[2:3], off offset:1456
	;; [unrolled: 1-line block ×4, first 2 shown]
	ds_store_b64 v41, v[0:1]
	ds_load_b64 v[0:1], v41 offset:728
	ds_load_b64 v[12:13], v5 offset:6552
	v_add_nc_u32_e32 v43, 0x400, v33
	s_wait_dscnt 0x0
	v_dual_add_f32 v14, v0, v12 :: v_dual_add_nc_u32 v45, 0x1000, v33
	v_dual_add_f32 v15, v13, v1 :: v_dual_sub_f32 v16, v0, v12
	v_sub_f32_e32 v0, v1, v13
	s_wait_loadcnt 0x3
	s_delay_alu instid0(VALU_DEP_1) | instskip(NEXT) | instid1(VALU_DEP_3)
	v_fma_f32 v1, v15, v7, v0
	v_fma_f32 v17, v16, v7, v14
	v_fma_f32 v12, -v16, v7, v14
	s_delay_alu instid0(VALU_DEP_3) | instskip(SKIP_1) | instid1(VALU_DEP_4)
	v_fmac_f32_e32 v1, v16, v6
	v_fma_f32 v13, v15, v7, -v0
	v_fma_f32 v0, -v6, v15, v17
	s_delay_alu instid0(VALU_DEP_2)
	v_dual_fmac_f32 v12, v6, v15 :: v_dual_fmac_f32 v13, v16, v6
	ds_store_b64 v41, v[0:1] offset:728
	ds_store_b64 v5, v[12:13] offset:6552
	ds_load_b64 v[0:1], v41 offset:1456
	ds_load_b64 v[6:7], v5 offset:5824
	s_wait_dscnt 0x0
	v_dual_add_f32 v13, v7, v1 :: v_dual_sub_f32 v14, v0, v6
	v_add_f32_e32 v12, v0, v6
	v_sub_f32_e32 v0, v1, v7
	s_wait_loadcnt 0x2
	s_delay_alu instid0(VALU_DEP_1) | instskip(NEXT) | instid1(VALU_DEP_1)
	v_fma_f32 v7, v13, v9, -v0
	v_fmac_f32_e32 v7, v14, v8
	v_fma_f32 v1, v13, v9, v0
	s_delay_alu instid0(VALU_DEP_1) | instskip(SKIP_2) | instid1(VALU_DEP_2)
	v_fmac_f32_e32 v1, v14, v8
	v_fma_f32 v15, v14, v9, v12
	v_fma_f32 v6, -v14, v9, v12
	v_fma_f32 v0, -v8, v13, v15
	s_delay_alu instid0(VALU_DEP_2)
	v_fmac_f32_e32 v6, v8, v13
	ds_store_b64 v41, v[0:1] offset:1456
	ds_store_b64 v5, v[6:7] offset:5824
	ds_load_b64 v[0:1], v41 offset:2184
	ds_load_b64 v[6:7], v5 offset:5096
	s_wait_dscnt 0x0
	v_dual_add_f32 v8, v0, v6 :: v_dual_add_f32 v9, v7, v1
	v_sub_f32_e32 v12, v0, v6
	v_sub_f32_e32 v0, v1, v7
	s_wait_loadcnt 0x1
	s_delay_alu instid0(VALU_DEP_2) | instskip(NEXT) | instid1(VALU_DEP_2)
	v_fma_f32 v13, v12, v11, v8
	v_fma_f32 v1, v9, v11, v0
	v_fma_f32 v6, -v12, v11, v8
	s_delay_alu instid0(VALU_DEP_2) | instskip(SKIP_2) | instid1(VALU_DEP_2)
	v_fmac_f32_e32 v1, v12, v10
	v_fma_f32 v7, v9, v11, -v0
	v_fma_f32 v0, -v10, v9, v13
	v_dual_fmac_f32 v6, v10, v9 :: v_dual_fmac_f32 v7, v12, v10
	ds_store_b64 v41, v[0:1] offset:2184
	ds_store_b64 v5, v[6:7] offset:5096
	ds_load_b64 v[0:1], v41 offset:2912
	ds_load_b64 v[6:7], v5 offset:4368
	s_wait_dscnt 0x0
	v_dual_add_f32 v8, v0, v6 :: v_dual_add_f32 v9, v7, v1
	v_sub_f32_e32 v10, v0, v6
	v_sub_f32_e32 v0, v1, v7
	s_wait_loadcnt 0x0
	s_delay_alu instid0(VALU_DEP_2) | instskip(NEXT) | instid1(VALU_DEP_2)
	v_fma_f32 v11, v10, v3, v8
	v_fma_f32 v7, v9, v3, -v0
	v_fma_f32 v6, -v10, v3, v8
	s_delay_alu instid0(VALU_DEP_2) | instskip(SKIP_2) | instid1(VALU_DEP_4)
	v_fmac_f32_e32 v7, v10, v2
	v_fma_f32 v1, v9, v3, v0
	v_fma_f32 v0, -v2, v9, v11
	v_fmac_f32_e32 v6, v2, v9
	s_delay_alu instid0(VALU_DEP_3)
	v_dual_fmac_f32 v1, v10, v2 :: v_dual_add_nc_u32 v2, 0x1800, v33
	ds_store_b64 v41, v[0:1] offset:2912
	ds_store_b64 v5, v[6:7] offset:4368
	global_wb scope:SCOPE_SE
	s_wait_dscnt 0x0
	s_barrier_signal -1
	s_barrier_wait -1
	global_inv scope:SCOPE_SE
	global_wb scope:SCOPE_SE
	s_barrier_signal -1
	s_barrier_wait -1
	global_inv scope:SCOPE_SE
	ds_load_2addr_b64 v[26:29], v33 offset0:70 offset1:140
	ds_load_2addr_b64 v[6:9], v2 offset0:2 offset1:72
	;; [unrolled: 1-line block ×4, first 2 shown]
	v_add_nc_u32_e32 v46, 0x800, v33
	v_add_nc_u32_e32 v44, 0xc00, v33
	s_wait_dscnt 0x0
	v_dual_add_f32 v64, v9, v27 :: v_dual_add_f32 v65, v11, v25
	v_add_f32_e32 v63, v10, v24
	v_sub_f32_e32 v93, v24, v10
	ds_load_2addr_b64 v[18:21], v46 offset0:94 offset1:164
	ds_load_2addr_b64 v[14:17], v44 offset0:106 offset1:176
	ds_load_b64 v[36:37], v41
	v_dual_sub_f32 v88, v26, v8 :: v_dual_sub_f32 v97, v27, v9
	v_sub_f32_e32 v90, v28, v6
	v_dual_add_f32 v62, v8, v26 :: v_dual_add_f32 v67, v7, v29
	s_delay_alu instid0(VALU_DEP_3) | instskip(SKIP_4) | instid1(VALU_DEP_4)
	v_dual_sub_f32 v92, v22, v12 :: v_dual_mul_f32 v57, 0xbeedf032, v97
	v_dual_sub_f32 v104, v25, v11 :: v_dual_mul_f32 v81, 0xbf52af12, v97
	v_add_f32_e32 v74, v13, v23
	v_sub_f32_e32 v99, v29, v7
	v_mul_f32_e32 v79, 0x3f29c268, v93
	v_mul_f32_e32 v51, 0xbf6f5d39, v104
	v_mul_f32_e32 v68, 0x3f29c268, v104
	s_delay_alu instid0(VALU_DEP_4)
	v_dual_add_f32 v66, v6, v28 :: v_dual_mul_f32 v73, 0xbf6f5d39, v99
	v_mul_f32_e32 v100, 0x3eedf032, v93
	v_fma_f32 v119, 0xbf3f9e67, v65, -v79
	s_wait_dscnt 0x1
	v_add_f32_e32 v75, v17, v19
	v_dual_add_f32 v71, v16, v18 :: v_dual_add_f32 v78, v15, v21
	v_mul_f32_e32 v83, 0xbf52af12, v88
	v_dual_sub_f32 v89, v18, v16 :: v_dual_mul_f32 v82, 0xbf6f5d39, v90
	v_dual_sub_f32 v102, v23, v13 :: v_dual_mul_f32 v59, 0xbeedf032, v88
	s_delay_alu instid0(VALU_DEP_3)
	v_fma_f32 v3, 0x3f116cb1, v64, -v83
	v_mul_f32_e32 v56, 0xbf7e222b, v92
	v_dual_mul_f32 v80, 0xbe750f2a, v92 :: v_dual_mul_f32 v103, 0xbe750f2a, v90
	v_dual_mul_f32 v94, 0xbf7e222b, v97 :: v_dual_mul_f32 v105, 0xbf7e222b, v88
	v_fma_f32 v39, 0xbeb58ec6, v67, -v82
	s_wait_dscnt 0x0
	v_add_f32_e32 v3, v37, v3
	v_dual_sub_f32 v107, v19, v17 :: v_dual_sub_f32 v84, v20, v14
	v_dual_sub_f32 v106, v21, v15 :: v_dual_mul_f32 v53, 0xbf7e222b, v102
	s_delay_alu instid0(VALU_DEP_3)
	v_dual_mul_f32 v54, 0xbf6f5d39, v93 :: v_dual_add_f32 v3, v39, v3
	v_fma_f32 v1, 0x3f62ad3f, v64, -v59
	v_mul_f32_e32 v58, 0xbf52af12, v90
	v_fma_f32 v111, 0xbf788fa5, v74, -v80
	v_fma_f32 v130, 0x3df6dbef, v64, -v105
	v_mul_f32_e32 v50, 0xbe750f2a, v84
	v_mul_f32_e32 v61, 0x3eedf032, v106
	;; [unrolled: 1-line block ×3, first 2 shown]
	v_fma_f32 v131, 0xbf788fa5, v67, -v103
	v_add_f32_e32 v130, v37, v130
	v_mul_f32_e32 v76, 0x3f7e222b, v89
	v_add_f32_e32 v1, v37, v1
	v_fma_f32 v5, 0x3f116cb1, v67, -v58
	v_add_f32_e32 v3, v111, v3
	v_mul_f32_e32 v60, 0x3f7e222b, v107
	v_mul_f32_e32 v98, 0xbf52af12, v89
	v_fma_f32 v133, 0x3f62ad3f, v65, -v100
	v_dual_fmamk_f32 v2, v62, 0x3f116cb1, v81 :: v_dual_add_f32 v1, v5, v1
	v_add_f32_e32 v5, v131, v130
	v_fma_f32 v121, 0x3df6dbef, v75, -v76
	v_add_f32_e32 v3, v119, v3
	s_delay_alu instid0(VALU_DEP_4) | instskip(SKIP_2) | instid1(VALU_DEP_4)
	v_dual_mul_f32 v77, 0x3eedf032, v84 :: v_dual_add_f32 v2, v36, v2
	v_fmamk_f32 v38, v66, 0xbeb58ec6, v73
	v_fma_f32 v109, 0x3df6dbef, v74, -v56
	v_add_f32_e32 v3, v121, v3
	v_mul_f32_e32 v101, 0x3f6f5d39, v92
	v_dual_mul_f32 v49, 0xbf29c268, v107 :: v_dual_mul_f32 v52, 0xbf29c268, v89
	v_add_f32_e32 v2, v38, v2
	v_dual_mul_f32 v48, 0xbe750f2a, v106 :: v_dual_add_f32 v1, v109, v1
	s_delay_alu instid0(VALU_DEP_4)
	v_fma_f32 v132, 0xbeb58ec6, v74, -v101
	v_mul_f32_e32 v86, 0xbf52af12, v107
	v_fma_f32 v113, 0xbeb58ec6, v65, -v54
	v_dual_add_f32 v69, v12, v22 :: v_dual_add_f32 v72, v14, v20
	v_mul_f32_e32 v55, 0xbf52af12, v99
	v_add_f32_e32 v5, v132, v5
	v_dual_mul_f32 v85, 0xbf29c268, v106 :: v_dual_mul_f32 v96, 0xbf29c268, v84
	v_dual_fmamk_f32 v0, v62, 0x3f62ad3f, v57 :: v_dual_add_f32 v1, v113, v1
	v_fma_f32 v116, 0xbf3f9e67, v75, -v52
	v_fma_f32 v134, 0x3f116cb1, v75, -v98
	v_dual_add_f32 v5, v133, v5 :: v_dual_mul_f32 v70, 0xbe750f2a, v102
	v_mul_f32_e32 v95, 0xbe750f2a, v99
	s_delay_alu instid0(VALU_DEP_4) | instskip(NEXT) | instid1(VALU_DEP_3)
	v_dual_fmamk_f32 v4, v66, 0x3f116cb1, v55 :: v_dual_add_f32 v1, v116, v1
	v_dual_fmamk_f32 v108, v69, 0x3df6dbef, v53 :: v_dual_add_f32 v39, v134, v5
	v_fma_f32 v118, 0xbf788fa5, v78, -v50
	v_fma_f32 v135, 0xbf3f9e67, v78, -v96
	v_fmamk_f32 v124, v62, 0x3df6dbef, v94
	v_dual_mul_f32 v91, 0x3f6f5d39, v102 :: v_dual_add_f32 v0, v36, v0
	v_dual_fmamk_f32 v110, v69, 0xbf788fa5, v70 :: v_dual_fmamk_f32 v125, v66, 0xbf788fa5, v95
	v_dual_fmamk_f32 v112, v63, 0xbeb58ec6, v51 :: v_dual_add_f32 v5, v118, v1
	v_add_f32_e32 v1, v135, v39
	v_dual_fmamk_f32 v115, v71, 0xbf3f9e67, v49 :: v_dual_add_f32 v124, v36, v124
	v_fmamk_f32 v117, v72, 0xbf788fa5, v48
	v_fmamk_f32 v126, v69, 0xbeb58ec6, v91
	v_dual_fmamk_f32 v127, v63, 0x3f62ad3f, v87 :: v_dual_add_f32 v0, v4, v0
	s_delay_alu instid0(VALU_DEP_4) | instskip(SKIP_2) | instid1(VALU_DEP_4)
	v_add_f32_e32 v4, v125, v124
	v_dual_fmamk_f32 v114, v63, 0xbf3f9e67, v68 :: v_dual_fmamk_f32 v129, v72, 0xbf3f9e67, v85
	v_add_f32_e32 v2, v110, v2
	v_add_f32_e32 v0, v108, v0
	s_delay_alu instid0(VALU_DEP_4)
	v_add_f32_e32 v4, v126, v4
	v_fmamk_f32 v120, v71, 0x3df6dbef, v60
	v_fmamk_f32 v128, v71, 0x3f116cb1, v86
	v_add_f32_e32 v2, v114, v2
	v_add_f32_e32 v0, v112, v0
	;; [unrolled: 1-line block ×3, first 2 shown]
	v_fma_f32 v123, 0x3f62ad3f, v78, -v77
	v_fmamk_f32 v122, v72, 0x3f62ad3f, v61
	v_add_f32_e32 v2, v120, v2
	v_add_f32_e32 v0, v115, v0
	s_delay_alu instid0(VALU_DEP_4)
	v_dual_add_f32 v38, v128, v4 :: v_dual_add_f32 v3, v123, v3
	global_wb scope:SCOPE_SE
	v_add_f32_e32 v2, v122, v2
	v_add_f32_e32 v4, v117, v0
	;; [unrolled: 1-line block ×3, first 2 shown]
	s_barrier_signal -1
	s_barrier_wait -1
	global_inv scope:SCOPE_SE
	v_cmpx_gt_u32_e32 0x46, v32
	s_cbranch_execz .LBB0_21
; %bb.20:
	v_mul_f32_e32 v112, 0xbf6f5d39, v97
	v_mul_f32_e32 v111, 0xbeb58ec6, v64
	;; [unrolled: 1-line block ×3, first 2 shown]
	v_dual_mul_f32 v125, 0xbf3f9e67, v74 :: v_dual_mul_f32 v136, 0xbf3f9e67, v64
	s_delay_alu instid0(VALU_DEP_4) | instskip(SKIP_1) | instid1(VALU_DEP_4)
	v_fmamk_f32 v39, v62, 0xbeb58ec6, v112
	v_dual_mul_f32 v119, 0xbf788fa5, v75 :: v_dual_mul_f32 v122, 0xbf788fa5, v64
	v_fmamk_f32 v109, v66, 0xbf3f9e67, v114
	s_delay_alu instid0(VALU_DEP_4) | instskip(NEXT) | instid1(VALU_DEP_4)
	v_fmamk_f32 v138, v88, 0x3f29c268, v136
	v_add_f32_e32 v39, v36, v39
	v_fmamk_f32 v38, v88, 0x3f6f5d39, v111
	v_fmac_f32_e32 v136, 0xbf29c268, v88
	v_mul_f32_e32 v130, 0xbf29c268, v102
	v_dual_mul_f32 v143, 0x3f62ad3f, v75 :: v_dual_add_f32 v138, v37, v138
	v_add_f32_e32 v39, v109, v39
	v_dual_add_f32 v38, v37, v38 :: v_dual_mul_f32 v113, 0xbf3f9e67, v67
	v_mul_f32_e32 v116, 0x3eedf032, v102
	v_mul_f32_e32 v115, 0x3f62ad3f, v74
	;; [unrolled: 1-line block ×3, first 2 shown]
	s_delay_alu instid0(VALU_DEP_4) | instskip(SKIP_3) | instid1(VALU_DEP_4)
	v_dual_mul_f32 v97, 0xbf29c268, v97 :: v_dual_fmamk_f32 v108, v90, 0xbf29c268, v113
	v_mul_f32_e32 v120, 0x3e750f2a, v107
	v_mul_f32_e32 v123, 0x3f62ad3f, v67
	v_mul_f32_e32 v126, 0x3f52af12, v106
	v_fma_f32 v139, 0xbf3f9e67, v62, -v97
	v_add_f32_e32 v38, v108, v38
	v_fmamk_f32 v108, v69, 0x3f62ad3f, v116
	v_fmamk_f32 v110, v92, 0xbeedf032, v115
	v_mul_f32_e32 v117, 0x3df6dbef, v65
	v_dual_add_f32 v139, v36, v139 :: v_dual_mul_f32 v128, 0x3f116cb1, v65
	s_delay_alu instid0(VALU_DEP_3) | instskip(NEXT) | instid1(VALU_DEP_3)
	v_dual_fmamk_f32 v133, v72, 0x3f116cb1, v126 :: v_dual_add_f32 v38, v110, v38
	v_fmamk_f32 v109, v93, 0x3f7e222b, v117
	v_dual_add_f32 v39, v108, v39 :: v_dual_mul_f32 v118, 0xbf7e222b, v104
	v_fmamk_f32 v108, v89, 0xbe750f2a, v119
	v_mul_f32_e32 v135, 0x3df6dbef, v78
	s_delay_alu instid0(VALU_DEP_4) | instskip(NEXT) | instid1(VALU_DEP_4)
	v_dual_add_f32 v38, v109, v38 :: v_dual_fmamk_f32 v109, v71, 0xbf788fa5, v120
	v_fmamk_f32 v110, v63, 0x3df6dbef, v118
	v_mul_f32_e32 v134, 0xbf6f5d39, v107
	v_mul_f32_e32 v132, 0x3f52af12, v104
	s_delay_alu instid0(VALU_DEP_4)
	v_add_f32_e32 v38, v108, v38
	v_fmamk_f32 v108, v88, 0x3e750f2a, v122
	v_mul_f32_e32 v121, 0x3f116cb1, v78
	v_dual_add_f32 v39, v110, v39 :: v_dual_fmac_f32 v122, 0xbe750f2a, v88
	v_fmamk_f32 v97, v62, 0xbf3f9e67, v97
	v_mul_f32_e32 v102, 0xbf52af12, v102
	s_delay_alu instid0(VALU_DEP_3) | instskip(SKIP_2) | instid1(VALU_DEP_3)
	v_dual_fmamk_f32 v110, v84, 0xbf52af12, v121 :: v_dual_add_f32 v109, v109, v39
	v_fmamk_f32 v137, v84, 0xbf7e222b, v135
	v_dual_mul_f32 v104, 0x3e750f2a, v104 :: v_dual_fmac_f32 v119, 0x3e750f2a, v89
	v_dual_add_f32 v39, v110, v38 :: v_dual_add_f32 v38, v37, v108
	v_dual_fmamk_f32 v108, v90, 0xbeedf032, v123 :: v_dual_add_f32 v97, v36, v97
	v_mul_f32_e32 v144, 0x3eedf032, v107
	v_mul_f32_e32 v142, 0xbf788fa5, v65
	s_delay_alu instid0(VALU_DEP_3) | instskip(SKIP_3) | instid1(VALU_DEP_3)
	v_dual_fmac_f32 v121, 0x3f52af12, v84 :: v_dual_add_f32 v38, v108, v38
	v_fmamk_f32 v108, v92, 0x3f29c268, v125
	v_dual_add_f32 v26, v36, v26 :: v_dual_fmac_f32 v111, 0xbf6f5d39, v88
	v_fmac_f32_e32 v113, 0x3f29c268, v90
	v_dual_fmac_f32 v115, 0x3eedf032, v92 :: v_dual_add_f32 v38, v108, v38
	v_fmamk_f32 v108, v93, 0xbf52af12, v128
	v_mul_f32_e32 v131, 0xbeb58ec6, v75
	v_fmac_f32_e32 v123, 0x3eedf032, v90
	v_fmac_f32_e32 v128, 0x3f52af12, v93
	v_add_f32_e32 v28, v26, v28
	v_add_f32_e32 v38, v108, v38
	v_fmamk_f32 v108, v89, 0x3f6f5d39, v131
	v_fmac_f32_e32 v131, 0xbf6f5d39, v89
	s_delay_alu instid0(VALU_DEP_4) | instskip(NEXT) | instid1(VALU_DEP_3)
	v_dual_fmac_f32 v117, 0xbf7e222b, v93 :: v_dual_add_f32 v22, v28, v22
	v_dual_fmac_f32 v135, 0x3f7e222b, v84 :: v_dual_add_f32 v108, v108, v38
	v_dual_add_f32 v38, v133, v109 :: v_dual_mul_f32 v109, 0x3df6dbef, v67
	v_add_f32_e32 v27, v37, v27
	s_delay_alu instid0(VALU_DEP_3) | instskip(NEXT) | instid1(VALU_DEP_3)
	v_dual_add_f32 v108, v137, v108 :: v_dual_mul_f32 v137, 0x3f7e222b, v106
	v_fmamk_f32 v133, v90, 0xbf7e222b, v109
	s_delay_alu instid0(VALU_DEP_3) | instskip(NEXT) | instid1(VALU_DEP_3)
	v_dual_mul_f32 v106, 0xbf6f5d39, v106 :: v_dual_add_f32 v27, v27, v29
	v_fmamk_f32 v141, v72, 0x3df6dbef, v137
	s_delay_alu instid0(VALU_DEP_3) | instskip(NEXT) | instid1(VALU_DEP_1)
	v_dual_add_f32 v133, v133, v138 :: v_dual_fmamk_f32 v110, v62, 0xbf788fa5, v124
	v_dual_add_f32 v23, v27, v23 :: v_dual_add_f32 v110, v36, v110
	v_mul_f32_e32 v127, 0x3eedf032, v99
	v_mul_f32_e32 v99, 0x3f7e222b, v99
	s_delay_alu instid0(VALU_DEP_3) | instskip(NEXT) | instid1(VALU_DEP_3)
	v_add_f32_e32 v23, v23, v25
	v_fmamk_f32 v129, v66, 0x3f62ad3f, v127
	s_delay_alu instid0(VALU_DEP_3) | instskip(SKIP_1) | instid1(VALU_DEP_3)
	v_fma_f32 v140, 0x3df6dbef, v66, -v99
	v_fmamk_f32 v99, v66, 0x3df6dbef, v99
	v_dual_add_f32 v19, v23, v19 :: v_dual_add_f32 v110, v129, v110
	v_fmamk_f32 v129, v69, 0xbf3f9e67, v130
	s_delay_alu instid0(VALU_DEP_3) | instskip(SKIP_1) | instid1(VALU_DEP_3)
	v_add_f32_e32 v97, v99, v97
	v_fmamk_f32 v99, v69, 0x3f116cb1, v102
	v_dual_add_f32 v19, v19, v21 :: v_dual_add_f32 v110, v129, v110
	v_fmamk_f32 v129, v63, 0x3f116cb1, v132
	s_delay_alu instid0(VALU_DEP_3) | instskip(SKIP_2) | instid1(VALU_DEP_4)
	v_add_f32_e32 v97, v99, v97
	v_fma_f32 v99, 0xbf788fa5, v62, -v124
	v_fmac_f32_e32 v125, 0xbf29c268, v92
	v_dual_add_f32 v15, v19, v15 :: v_dual_add_f32 v110, v129, v110
	s_delay_alu instid0(VALU_DEP_3) | instskip(SKIP_1) | instid1(VALU_DEP_2)
	v_dual_fmamk_f32 v129, v71, 0xbeb58ec6, v134 :: v_dual_add_f32 v88, v36, v99
	v_fma_f32 v99, 0x3f62ad3f, v66, -v127
	v_dual_add_f32 v15, v15, v17 :: v_dual_add_f32 v110, v129, v110
	v_dual_add_f32 v129, v37, v136 :: v_dual_mul_f32 v136, 0x3f116cb1, v74
	s_delay_alu instid0(VALU_DEP_3) | instskip(SKIP_1) | instid1(VALU_DEP_4)
	v_dual_fmac_f32 v109, 0x3f7e222b, v90 :: v_dual_add_f32 v88, v99, v88
	v_add_f32_e32 v90, v37, v111
	v_add_f32_e32 v107, v141, v110
	v_fma_f32 v99, 0xbf3f9e67, v69, -v130
	s_delay_alu instid0(VALU_DEP_4) | instskip(SKIP_4) | instid1(VALU_DEP_4)
	v_add_f32_e32 v109, v109, v129
	v_fmamk_f32 v129, v92, 0x3f52af12, v136
	v_fmac_f32_e32 v136, 0xbf52af12, v92
	v_add_f32_e32 v90, v113, v90
	v_fmamk_f32 v92, v71, 0x3f62ad3f, v144
	v_dual_add_f32 v88, v99, v88 :: v_dual_add_f32 v129, v129, v133
	s_delay_alu instid0(VALU_DEP_4)
	v_add_f32_e32 v109, v136, v109
	v_add_f32_e32 v136, v140, v139
	v_fma_f32 v139, 0x3f116cb1, v69, -v102
	v_add_f32_e32 v90, v115, v90
	v_dual_add_f32 v102, v37, v122 :: v_dual_mul_f32 v111, 0xbf3f9e67, v71
	v_fma_f32 v115, 0x3f116cb1, v72, -v126
	s_delay_alu instid0(VALU_DEP_4) | instskip(SKIP_4) | instid1(VALU_DEP_3)
	v_add_f32_e32 v136, v139, v136
	v_fma_f32 v139, 0xbf788fa5, v63, -v104
	v_dual_fmamk_f32 v104, v63, 0xbf788fa5, v104 :: v_dual_mul_f32 v113, 0xbf788fa5, v78
	v_add_f32_e32 v11, v15, v11
	v_sub_f32_e32 v15, v111, v49
	v_dual_add_f32 v136, v139, v136 :: v_dual_add_f32 v97, v104, v97
	s_delay_alu instid0(VALU_DEP_3) | instskip(NEXT) | instid1(VALU_DEP_2)
	v_add_f32_e32 v11, v11, v13
	v_dual_add_f32 v92, v92, v97 :: v_dual_mul_f32 v97, 0x3df6dbef, v64
	s_delay_alu instid0(VALU_DEP_2) | instskip(NEXT) | instid1(VALU_DEP_2)
	v_dual_add_f32 v90, v117, v90 :: v_dual_add_f32 v11, v11, v7
	v_dual_add_f32 v97, v105, v97 :: v_dual_mul_f32 v110, 0xbeb58ec6, v78
	v_fma_f32 v105, 0xbf788fa5, v71, -v120
	s_delay_alu instid0(VALU_DEP_3) | instskip(NEXT) | instid1(VALU_DEP_4)
	v_add_f32_e32 v90, v119, v90
	v_add_f32_e32 v9, v11, v9
	s_delay_alu instid0(VALU_DEP_4) | instskip(SKIP_1) | instid1(VALU_DEP_1)
	v_add_f32_e32 v97, v37, v97
	v_fmamk_f32 v140, v93, 0xbe750f2a, v142
	v_add_f32_e32 v129, v140, v129
	v_fma_f32 v99, 0x3f116cb1, v63, -v132
	s_delay_alu instid0(VALU_DEP_1) | instskip(SKIP_1) | instid1(VALU_DEP_1)
	v_add_f32_e32 v88, v99, v88
	v_fma_f32 v99, 0xbeb58ec6, v62, -v112
	v_dual_add_f32 v99, v36, v99 :: v_dual_fmac_f32 v142, 0x3e750f2a, v93
	s_delay_alu instid0(VALU_DEP_1) | instskip(SKIP_3) | instid1(VALU_DEP_3)
	v_dual_add_f32 v109, v142, v109 :: v_dual_fmamk_f32 v142, v89, 0xbeedf032, v143
	v_fmac_f32_e32 v143, 0x3eedf032, v89
	v_fma_f32 v89, 0xbf3f9e67, v66, -v114
	v_fma_f32 v139, 0x3f62ad3f, v71, -v144
	v_add_f32_e32 v109, v143, v109
	s_delay_alu instid0(VALU_DEP_3) | instskip(SKIP_1) | instid1(VALU_DEP_4)
	v_add_f32_e32 v89, v89, v99
	v_fma_f32 v99, 0x3f62ad3f, v69, -v116
	v_add_f32_e32 v136, v139, v136
	v_fma_f32 v114, 0x3df6dbef, v72, -v137
	s_delay_alu instid0(VALU_DEP_3) | instskip(SKIP_3) | instid1(VALU_DEP_2)
	v_add_f32_e32 v89, v99, v89
	v_add_f32_e32 v122, v142, v129
	;; [unrolled: 1-line block ×3, first 2 shown]
	v_mul_f32_e32 v99, 0x3f62ad3f, v62
	v_add_f32_e32 v102, v125, v102
	s_delay_alu instid0(VALU_DEP_1) | instskip(NEXT) | instid1(VALU_DEP_1)
	v_add_f32_e32 v102, v128, v102
	v_dual_add_f32 v93, v131, v102 :: v_dual_mul_f32 v102, 0xbf788fa5, v67
	s_delay_alu instid0(VALU_DEP_1) | instskip(SKIP_1) | instid1(VALU_DEP_2)
	v_add_f32_e32 v102, v103, v102
	v_mul_f32_e32 v103, 0xbeb58ec6, v74
	v_dual_fmamk_f32 v138, v84, 0x3f6f5d39, v110 :: v_dual_add_f32 v97, v102, v97
	s_delay_alu instid0(VALU_DEP_2) | instskip(SKIP_2) | instid1(VALU_DEP_3)
	v_dual_add_f32 v101, v101, v103 :: v_dual_fmac_f32 v110, 0xbf6f5d39, v84
	v_mul_f32_e32 v102, 0x3f62ad3f, v65
	v_fma_f32 v103, 0x3df6dbef, v63, -v118
	v_add_f32_e32 v97, v101, v97
	s_delay_alu instid0(VALU_DEP_4) | instskip(SKIP_3) | instid1(VALU_DEP_3)
	v_add_f32_e32 v110, v110, v109
	v_fma_f32 v109, 0xbeb58ec6, v72, -v106
	v_dual_add_f32 v100, v100, v102 :: v_dual_mul_f32 v101, 0x3f62ad3f, v64
	v_mul_f32_e32 v64, 0x3f116cb1, v64
	v_dual_fmamk_f32 v106, v72, 0xbeb58ec6, v106 :: v_dual_add_f32 v109, v109, v136
	v_fma_f32 v104, 0xbeb58ec6, v71, -v134
	s_delay_alu instid0(VALU_DEP_4) | instskip(SKIP_4) | instid1(VALU_DEP_4)
	v_dual_add_f32 v97, v100, v97 :: v_dual_mul_f32 v100, 0x3f116cb1, v67
	v_mul_f32_e32 v67, 0xbeb58ec6, v67
	v_mul_f32_e32 v102, 0x3f116cb1, v62
	;; [unrolled: 1-line block ×3, first 2 shown]
	v_dual_add_f32 v88, v104, v88 :: v_dual_add_f32 v89, v103, v89
	v_add_f32_e32 v67, v82, v67
	s_delay_alu instid0(VALU_DEP_4) | instskip(NEXT) | instid1(VALU_DEP_4)
	v_dual_mul_f32 v104, 0x3f116cb1, v75 :: v_dual_sub_f32 v81, v102, v81
	v_sub_f32_e32 v62, v62, v94
	v_mul_f32_e32 v94, 0xbf3f9e67, v78
	v_mul_f32_e32 v82, 0x3df6dbef, v71
	v_dual_mul_f32 v71, 0x3f116cb1, v71 :: v_dual_add_f32 v64, v83, v64
	v_dual_mul_f32 v103, 0x3f116cb1, v66 :: v_dual_add_f32 v98, v98, v104
	v_dual_mul_f32 v83, 0xbeb58ec6, v65 :: v_dual_mul_f32 v104, 0xbeb58ec6, v66
	s_delay_alu instid0(VALU_DEP_3) | instskip(SKIP_3) | instid1(VALU_DEP_3)
	v_add_f32_e32 v116, v37, v64
	v_mul_f32_e32 v66, 0xbf788fa5, v66
	v_dual_mul_f32 v65, 0xbf3f9e67, v65 :: v_dual_add_f32 v94, v96, v94
	v_dual_mul_f32 v96, 0xbf3f9e67, v63 :: v_dual_sub_f32 v71, v71, v86
	v_dual_add_f32 v67, v67, v116 :: v_dual_sub_f32 v66, v66, v95
	v_mul_f32_e32 v95, 0xbeb58ec6, v63
	v_mul_f32_e32 v63, 0x3f62ad3f, v63
	v_add_f32_e32 v89, v105, v89
	v_mul_f32_e32 v105, 0x3df6dbef, v74
	v_add_f32_e32 v97, v98, v97
	s_delay_alu instid0(VALU_DEP_4) | instskip(SKIP_4) | instid1(VALU_DEP_4)
	v_dual_mul_f32 v98, 0xbf788fa5, v69 :: v_dual_sub_f32 v63, v63, v87
	v_dual_mul_f32 v74, 0xbf788fa5, v74 :: v_dual_sub_f32 v73, v104, v73
	v_mul_f32_e32 v84, 0x3df6dbef, v69
	v_mul_f32_e32 v69, 0xbeb58ec6, v69
	;; [unrolled: 1-line block ×3, first 2 shown]
	v_add_f32_e32 v74, v80, v74
	v_dual_add_f32 v62, v36, v62 :: v_dual_mul_f32 v87, 0x3f62ad3f, v72
	v_mul_f32_e32 v72, 0xbf3f9e67, v72
	s_delay_alu instid0(VALU_DEP_3) | instskip(NEXT) | instid1(VALU_DEP_3)
	v_dual_add_f32 v80, v36, v81 :: v_dual_add_f32 v67, v74, v67
	v_add_f32_e32 v62, v66, v62
	v_dual_sub_f32 v66, v69, v91 :: v_dual_add_f32 v65, v79, v65
	s_delay_alu instid0(VALU_DEP_3) | instskip(SKIP_1) | instid1(VALU_DEP_3)
	v_dual_add_f32 v73, v73, v80 :: v_dual_add_f32 v28, v59, v101
	v_sub_f32_e32 v70, v98, v70
	v_dual_add_f32 v112, v66, v62 :: v_dual_add_f32 v65, v65, v67
	v_dual_add_f32 v62, v138, v122 :: v_dual_mul_f32 v91, 0xbf3f9e67, v75
	v_mul_f32_e32 v75, 0x3df6dbef, v75
	s_delay_alu instid0(VALU_DEP_4) | instskip(SKIP_2) | instid1(VALU_DEP_4)
	v_dual_add_f32 v25, v37, v28 :: v_dual_add_f32 v70, v70, v73
	v_mul_f32_e32 v78, 0x3f62ad3f, v78
	v_dual_sub_f32 v68, v96, v68 :: v_dual_sub_f32 v23, v103, v55
	v_add_f32_e32 v67, v76, v75
	v_add_f32_e32 v19, v54, v83
	;; [unrolled: 1-line block ×3, first 2 shown]
	s_delay_alu instid0(VALU_DEP_4) | instskip(NEXT) | instid1(VALU_DEP_4)
	v_dual_add_f32 v70, v68, v70 :: v_dual_add_f32 v69, v94, v97
	v_add_f32_e32 v65, v67, v65
	v_dual_add_f32 v67, v77, v78 :: v_dual_sub_f32 v24, v99, v57
	v_add_f32_e32 v28, v58, v100
	v_add_f32_e32 v18, v22, v18
	v_dual_add_f32 v64, v135, v93 :: v_dual_sub_f32 v29, v82, v60
	s_delay_alu instid0(VALU_DEP_4) | instskip(SKIP_1) | instid1(VALU_DEP_4)
	v_add_f32_e32 v26, v67, v65
	v_add_f32_e32 v22, v36, v24
	;; [unrolled: 1-line block ×3, first 2 shown]
	v_dual_add_f32 v63, v63, v112 :: v_dual_add_f32 v24, v28, v25
	s_delay_alu instid0(VALU_DEP_3) | instskip(NEXT) | instid1(VALU_DEP_3)
	v_dual_add_f32 v20, v56, v105 :: v_dual_add_f32 v21, v23, v22
	v_add_f32_e32 v14, v18, v14
	v_sub_f32_e32 v22, v84, v53
	v_add_f32_e32 v66, v121, v90
	v_add_f32_e32 v27, v29, v70
	s_delay_alu instid0(VALU_DEP_4) | instskip(SKIP_3) | instid1(VALU_DEP_4)
	v_dual_sub_f32 v29, v87, v61 :: v_dual_add_f32 v14, v14, v16
	v_dual_sub_f32 v16, v95, v51 :: v_dual_add_f32 v61, v106, v92
	v_dual_add_f32 v18, v20, v24 :: v_dual_add_f32 v65, v115, v89
	v_add_f32_e32 v20, v22, v21
	v_dual_add_f32 v10, v14, v10 :: v_dual_add_f32 v63, v71, v63
	s_delay_alu instid0(VALU_DEP_3) | instskip(NEXT) | instid1(VALU_DEP_3)
	v_dual_add_f32 v17, v19, v18 :: v_dual_add_f32 v18, v52, v91
	v_add_f32_e32 v14, v16, v20
	s_delay_alu instid0(VALU_DEP_3) | instskip(SKIP_1) | instid1(VALU_DEP_3)
	v_dual_add_f32 v10, v10, v12 :: v_dual_sub_f32 v71, v72, v85
	v_add_f32_e32 v12, v50, v113
	v_dual_add_f32 v16, v18, v17 :: v_dual_add_f32 v13, v15, v14
	v_sub_f32_e32 v14, v102, v48
	s_delay_alu instid0(VALU_DEP_4) | instskip(SKIP_1) | instid1(VALU_DEP_4)
	v_add_f32_e32 v10, v10, v6
	v_mul_u32_u24_e32 v15, 0x60, v32
	v_dual_add_f32 v68, v71, v63 :: v_dual_add_f32 v7, v12, v16
	s_delay_alu instid0(VALU_DEP_4) | instskip(NEXT) | instid1(VALU_DEP_4)
	v_add_f32_e32 v6, v14, v13
	v_add_f32_e32 v8, v10, v8
	s_delay_alu instid0(VALU_DEP_4)
	v_add3_u32 v10, v47, v15, v42
	v_add_f32_e32 v25, v29, v27
	v_add_f32_e32 v63, v114, v88
	ds_store_2addr_b64 v10, v[8:9], v[6:7] offset1:1
	ds_store_2addr_b64 v10, v[25:26], v[68:69] offset0:2 offset1:3
	ds_store_2addr_b64 v10, v[65:66], v[109:110] offset0:4 offset1:5
	ds_store_2addr_b64 v10, v[63:64], v[107:108] offset0:6 offset1:7
	ds_store_2addr_b64 v10, v[61:62], v[38:39] offset0:8 offset1:9
	ds_store_2addr_b64 v10, v[0:1], v[2:3] offset0:10 offset1:11
	ds_store_b64 v10, v[4:5] offset:96
.LBB0_21:
	s_wait_alu 0xfffe
	s_or_b32 exec_lo, exec_lo, s1
	v_and_b32_e32 v7, 0xff, v32
	v_add_nc_u32_e32 v6, 0xb6, v32
	v_add_nc_u32_e32 v28, 0x5b, v32
	;; [unrolled: 1-line block ×3, first 2 shown]
	global_wb scope:SCOPE_SE
	s_wait_dscnt 0x0
	v_mul_lo_u16 v36, 0x4f, v7
	v_and_b32_e32 v10, 0xffff, v6
	s_barrier_signal -1
	s_barrier_wait -1
	v_and_b32_e32 v7, 0xff, v28
	v_lshrrev_b16 v27, 10, v36
	v_mul_u32_u24_e32 v10, 0x4ec5, v10
	global_inv scope:SCOPE_SE
	v_and_b32_e32 v11, 0xffff, v8
	v_mul_lo_u16 v29, 0x4f, v7
	v_mul_lo_u16 v12, v27, 13
	v_lshrrev_b32_e32 v53, 18, v10
	v_cmp_gt_u32_e64 s0, 39, v32
	v_mul_u32_u24_e32 v11, 0x4ec5, v11
	v_lshrrev_b16 v39, 10, v29
	v_sub_nc_u16 v10, v32, v12
	s_delay_alu instid0(VALU_DEP_3) | instskip(NEXT) | instid1(VALU_DEP_3)
	v_lshrrev_b32_e32 v54, 18, v11
	v_mul_lo_u16 v11, v39, 13
	s_delay_alu instid0(VALU_DEP_3) | instskip(NEXT) | instid1(VALU_DEP_3)
	v_and_b32_e32 v10, 0xff, v10
	v_mul_lo_u16 v12, v54, 13
	s_delay_alu instid0(VALU_DEP_3) | instskip(NEXT) | instid1(VALU_DEP_3)
	v_sub_nc_u16 v11, v28, v11
	v_lshlrev_b32_e32 v56, 3, v10
	v_mad_u32_u24 v54, 0xd0, v54, 0
	global_load_b64 v[23:24], v56, s[8:9]
	v_add_nc_u32_e32 v9, 0x16c, v32
	s_delay_alu instid0(VALU_DEP_1) | instskip(NEXT) | instid1(VALU_DEP_1)
	v_and_b32_e32 v7, 0xffff, v9
	v_mul_u32_u24_e32 v7, 0x4ec5, v7
	s_delay_alu instid0(VALU_DEP_1) | instskip(SKIP_2) | instid1(VALU_DEP_3)
	v_lshrrev_b32_e32 v55, 18, v7
	v_mul_lo_u16 v7, v53, 13
	v_mad_u32_u24 v53, 0xd0, v53, 0
	v_mul_lo_u16 v13, v55, 13
	s_delay_alu instid0(VALU_DEP_3)
	v_sub_nc_u16 v6, v6, v7
	v_sub_nc_u16 v7, v8, v12
	v_and_b32_e32 v8, 0xff, v11
	v_mad_u32_u24 v55, 0xd0, v55, 0
	v_sub_nc_u16 v9, v9, v13
	v_and_b32_e32 v6, 0xffff, v6
	v_and_b32_e32 v7, 0xffff, v7
	v_lshlrev_b32_e32 v57, 3, v8
	s_delay_alu instid0(VALU_DEP_4) | instskip(NEXT) | instid1(VALU_DEP_4)
	v_and_b32_e32 v8, 0xffff, v9
	v_lshlrev_b32_e32 v58, 3, v6
	s_delay_alu instid0(VALU_DEP_4)
	v_lshlrev_b32_e32 v59, 3, v7
	global_load_b64 v[25:26], v57, s[8:9]
	v_add_nc_u32_e32 v6, 0x1400, v33
	v_lshlrev_b32_e32 v60, 3, v8
	v_add3_u32 v53, v53, v58, v42
	s_clause 0x2
	global_load_b64 v[37:38], v58, s[8:9]
	global_load_b64 v[47:48], v59, s[8:9]
	global_load_b64 v[49:50], v60, s[8:9]
	ds_load_2addr_b64 v[7:10], v44 offset0:71 offset1:162
	ds_load_2addr_b64 v[11:14], v33 offset0:91 offset1:182
	;; [unrolled: 1-line block ×4, first 2 shown]
	ds_load_b64 v[45:46], v41
	ds_load_b64 v[51:52], v33 offset:6552
	v_and_b32_e32 v27, 0xffff, v27
	global_wb scope:SCOPE_SE
	s_wait_loadcnt_dscnt 0x0
	s_barrier_signal -1
	s_barrier_wait -1
	global_inv scope:SCOPE_SE
	v_mad_u32_u24 v27, 0xd0, v27, 0
	s_delay_alu instid0(VALU_DEP_1) | instskip(SKIP_2) | instid1(VALU_DEP_2)
	v_add3_u32 v56, v27, v56, v42
	v_mul_f32_e32 v27, v24, v8
	v_mul_f32_e32 v24, v24, v7
	v_fma_f32 v7, v23, v7, -v27
	s_delay_alu instid0(VALU_DEP_2)
	v_fmac_f32_e32 v24, v23, v8
	v_mul_f32_e32 v8, v26, v10
	v_mul_f32_e32 v23, v26, v9
	v_dual_mul_f32 v26, v38, v16 :: v_dual_mul_f32 v27, v48, v18
	v_dual_mul_f32 v48, v48, v17 :: v_dual_and_b32 v39, 0xffff, v39
	v_mul_f32_e32 v38, v38, v15
	v_fma_f32 v8, v25, v9, -v8
	v_fmac_f32_e32 v23, v25, v10
	s_delay_alu instid0(VALU_DEP_4)
	v_fmac_f32_e32 v48, v47, v18
	v_mad_u32_u24 v39, 0xd0, v39, 0
	v_fma_f32 v9, v37, v15, -v26
	v_fmac_f32_e32 v38, v37, v16
	v_fma_f32 v10, v47, v17, -v27
	v_sub_f32_e32 v15, v45, v7
	v_add3_u32 v39, v39, v57, v42
	v_mul_f32_e32 v57, v50, v52
	v_mul_f32_e32 v50, v50, v51
	v_sub_f32_e32 v16, v46, v24
	v_dual_sub_f32 v26, v11, v8 :: v_dual_sub_f32 v27, v12, v23
	s_delay_alu instid0(VALU_DEP_4) | instskip(NEXT) | instid1(VALU_DEP_4)
	v_fma_f32 v7, v49, v51, -v57
	v_fmac_f32_e32 v50, v49, v52
	v_dual_sub_f32 v37, v13, v9 :: v_dual_sub_f32 v38, v14, v38
	v_dual_sub_f32 v8, v19, v10 :: v_dual_sub_f32 v9, v20, v48
	s_delay_alu instid0(VALU_DEP_3)
	v_dual_sub_f32 v24, v21, v7 :: v_dual_sub_f32 v25, v22, v50
	v_fma_f32 v17, v45, 2.0, -v15
	v_fma_f32 v18, v46, 2.0, -v16
	;; [unrolled: 1-line block ×6, first 2 shown]
	v_add3_u32 v54, v54, v59, v42
	v_fma_f32 v19, v19, 2.0, -v8
	v_fma_f32 v20, v20, 2.0, -v9
	v_add3_u32 v55, v55, v60, v42
	v_fma_f32 v10, v21, 2.0, -v24
	v_fma_f32 v11, v22, 2.0, -v25
	ds_store_2addr_b64 v56, v[17:18], v[15:16] offset1:13
	ds_store_2addr_b64 v39, v[45:46], v[26:27] offset1:13
	ds_store_2addr_b64 v53, v[12:13], v[37:38] offset1:13
	ds_store_2addr_b64 v54, v[19:20], v[8:9] offset1:13
	ds_store_2addr_b64 v55, v[10:11], v[24:25] offset1:13
	global_wb scope:SCOPE_SE
	s_wait_dscnt 0x0
	s_barrier_signal -1
	s_barrier_wait -1
	global_inv scope:SCOPE_SE
	ds_load_b64 v[26:27], v41
	ds_load_2addr_b64 v[20:23], v43 offset0:2 offset1:132
	ds_load_2addr_b64 v[16:19], v44 offset0:6 offset1:136
	;; [unrolled: 1-line block ×3, first 2 shown]
	s_and_saveexec_b32 s1, s0
	s_cbranch_execz .LBB0_23
; %bb.22:
	v_add_nc_u32_e32 v0, 0x800, v33
	v_add_nc_u32_e32 v1, 0xc00, v33
	ds_load_2addr_b64 v[8:11], v33 offset0:91 offset1:221
	ds_load_2addr_b32 v[24:25], v0 offset0:190 offset1:191
	ds_load_2addr_b64 v[0:3], v1 offset0:97 offset1:227
	ds_load_2addr_b64 v[4:7], v6 offset0:101 offset1:231
.LBB0_23:
	s_wait_alu 0xfffe
	s_or_b32 exec_lo, exec_lo, s1
	v_lshrrev_b16 v51, 11, v36
	s_delay_alu instid0(VALU_DEP_1) | instskip(NEXT) | instid1(VALU_DEP_1)
	v_mul_lo_u16 v36, v51, 26
	v_sub_nc_u16 v36, v32, v36
	s_delay_alu instid0(VALU_DEP_1) | instskip(NEXT) | instid1(VALU_DEP_1)
	v_and_b32_e32 v52, 0xff, v36
	v_mul_u32_u24_e32 v36, 6, v52
	s_delay_alu instid0(VALU_DEP_1)
	v_lshlrev_b32_e32 v47, 3, v36
	s_clause 0x2
	global_load_b128 v[36:39], v47, s[8:9] offset:104
	global_load_b128 v[43:46], v47, s[8:9] offset:120
	;; [unrolled: 1-line block ×3, first 2 shown]
	v_and_b32_e32 v51, 0xffff, v51
	global_wb scope:SCOPE_SE
	s_wait_loadcnt_dscnt 0x0
	s_barrier_signal -1
	s_barrier_wait -1
	global_inv scope:SCOPE_SE
	v_dual_mul_f32 v53, v39, v23 :: v_dual_mul_f32 v54, v44, v17
	v_mad_u32_u24 v51, 0x5b0, v51, 0
	v_dual_mul_f32 v39, v39, v22 :: v_dual_lshlrev_b32 v52, 3, v52
	v_dual_mul_f32 v44, v44, v16 :: v_dual_mul_f32 v55, v46, v19
	v_dual_mul_f32 v56, v48, v13 :: v_dual_mul_f32 v57, v50, v15
	s_delay_alu instid0(VALU_DEP_3) | instskip(SKIP_3) | instid1(VALU_DEP_2)
	v_add3_u32 v51, v51, v52, v42
	v_mul_f32_e32 v52, v37, v21
	v_dual_mul_f32 v37, v37, v20 :: v_dual_mul_f32 v46, v46, v18
	v_dual_mul_f32 v48, v48, v12 :: v_dual_fmac_f32 v39, v38, v23
	v_dual_mul_f32 v50, v50, v14 :: v_dual_fmac_f32 v37, v36, v21
	s_delay_alu instid0(VALU_DEP_4)
	v_fma_f32 v20, v36, v20, -v52
	v_fma_f32 v21, v38, v22, -v53
	;; [unrolled: 1-line block ×4, first 2 shown]
	v_fmac_f32_e32 v44, v43, v17
	v_fma_f32 v17, v45, v18, -v55
	v_fma_f32 v12, v47, v12, -v56
	v_fmac_f32_e32 v48, v47, v13
	v_dual_fmac_f32 v50, v49, v15 :: v_dual_add_f32 v13, v20, v14
	v_sub_f32_e32 v14, v20, v14
	v_add_f32_e32 v22, v16, v17
	v_sub_f32_e32 v16, v17, v16
	v_fmac_f32_e32 v46, v45, v19
	v_add_f32_e32 v19, v21, v12
	v_sub_f32_e32 v12, v21, v12
	v_sub_f32_e32 v21, v39, v48
	v_add_f32_e32 v15, v37, v50
	s_delay_alu instid0(VALU_DEP_3) | instskip(SKIP_2) | instid1(VALU_DEP_2)
	v_add_f32_e32 v43, v16, v12
	v_dual_add_f32 v20, v39, v48 :: v_dual_add_f32 v23, v44, v46
	v_dual_sub_f32 v18, v37, v50 :: v_dual_sub_f32 v17, v46, v44
	v_add_f32_e32 v37, v20, v15
	v_sub_f32_e32 v39, v20, v15
	s_delay_alu instid0(VALU_DEP_4)
	v_sub_f32_e32 v15, v15, v23
	v_add_f32_e32 v36, v19, v13
	v_dual_sub_f32 v38, v19, v13 :: v_dual_sub_f32 v19, v22, v19
	v_dual_sub_f32 v13, v13, v22 :: v_dual_sub_f32 v20, v23, v20
	v_dual_add_f32 v44, v17, v21 :: v_dual_sub_f32 v45, v16, v12
	v_dual_sub_f32 v46, v17, v21 :: v_dual_sub_f32 v47, v12, v14
	v_dual_sub_f32 v16, v14, v16 :: v_dual_sub_f32 v21, v21, v18
	v_dual_add_f32 v22, v22, v36 :: v_dual_add_f32 v23, v23, v37
	v_dual_add_f32 v14, v43, v14 :: v_dual_mul_f32 v15, 0x3f4a47b2, v15
	v_mul_f32_e32 v36, 0x3f4a47b2, v13
	v_sub_f32_e32 v17, v18, v17
	s_delay_alu instid0(VALU_DEP_4)
	v_dual_add_f32 v13, v23, v27 :: v_dual_add_f32 v18, v44, v18
	v_mul_f32_e32 v37, 0x3d64c772, v19
	v_dual_mul_f32 v43, 0x3d64c772, v20 :: v_dual_add_f32 v12, v22, v26
	v_dual_mul_f32 v44, 0xbf08b237, v45 :: v_dual_mul_f32 v45, 0xbf08b237, v46
	v_dual_fmamk_f32 v19, v19, 0x3d64c772, v36 :: v_dual_fmamk_f32 v20, v20, 0x3d64c772, v15
	v_mul_f32_e32 v46, 0x3f5ff5aa, v47
	s_delay_alu instid0(VALU_DEP_4)
	v_fma_f32 v27, 0x3f3bfb3b, v39, -v43
	v_fma_f32 v26, 0x3f3bfb3b, v38, -v37
	;; [unrolled: 1-line block ×5, first 2 shown]
	v_dual_fmamk_f32 v37, v16, 0x3eae86e6, v44 :: v_dual_fmamk_f32 v38, v17, 0x3eae86e6, v45
	v_fma_f32 v39, 0x3f5ff5aa, v47, -v44
	v_fmamk_f32 v16, v22, 0xbf955555, v12
	s_delay_alu instid0(VALU_DEP_4) | instskip(SKIP_2) | instid1(VALU_DEP_2)
	v_fmac_f32_e32 v43, 0x3ee1c552, v14
	v_mul_f32_e32 v48, 0x3f5ff5aa, v21
	v_fma_f32 v21, 0x3f5ff5aa, v21, -v45
	v_fma_f32 v44, 0xbeae86e6, v17, -v48
	v_fmamk_f32 v17, v23, 0xbf955555, v13
	v_fmac_f32_e32 v37, 0x3ee1c552, v14
	v_dual_fmac_f32 v38, 0x3ee1c552, v18 :: v_dual_add_f32 v45, v19, v16
	s_delay_alu instid0(VALU_DEP_3) | instskip(SKIP_3) | instid1(VALU_DEP_4)
	v_dual_fmac_f32 v39, 0x3ee1c552, v14 :: v_dual_add_f32 v46, v20, v17
	v_dual_add_f32 v20, v26, v16 :: v_dual_fmac_f32 v21, 0x3ee1c552, v18
	v_add_f32_e32 v22, v36, v16
	v_dual_fmac_f32 v44, 0x3ee1c552, v18 :: v_dual_add_f32 v23, v15, v17
	v_sub_f32_e32 v15, v46, v37
	v_add_f32_e32 v26, v27, v17
	v_add_f32_e32 v14, v38, v45
	s_delay_alu instid0(VALU_DEP_4) | instskip(SKIP_1) | instid1(VALU_DEP_4)
	v_dual_add_f32 v16, v44, v22 :: v_dual_sub_f32 v17, v23, v43
	v_dual_sub_f32 v18, v20, v21 :: v_dual_add_f32 v23, v43, v23
	v_dual_add_f32 v19, v39, v26 :: v_dual_add_f32 v20, v21, v20
	v_sub_f32_e32 v21, v26, v39
	v_dual_sub_f32 v22, v22, v44 :: v_dual_add_f32 v27, v37, v46
	v_sub_f32_e32 v26, v45, v38
	ds_store_2addr_b64 v51, v[12:13], v[14:15] offset1:26
	ds_store_2addr_b64 v51, v[16:17], v[18:19] offset0:52 offset1:78
	ds_store_2addr_b64 v51, v[20:21], v[22:23] offset0:104 offset1:130
	ds_store_b64 v51, v[26:27] offset:1248
	s_and_saveexec_b32 s1, s0
	s_cbranch_execz .LBB0_25
; %bb.24:
	v_lshrrev_b16 v26, 11, v29
	s_delay_alu instid0(VALU_DEP_1) | instskip(NEXT) | instid1(VALU_DEP_1)
	v_mul_lo_u16 v12, v26, 26
	v_sub_nc_u16 v12, v28, v12
	s_delay_alu instid0(VALU_DEP_1) | instskip(NEXT) | instid1(VALU_DEP_1)
	v_and_b32_e32 v27, 0xff, v12
	v_mul_u32_u24_e32 v12, 6, v27
	s_delay_alu instid0(VALU_DEP_1)
	v_lshlrev_b32_e32 v20, 3, v12
	s_clause 0x2
	global_load_b128 v[12:15], v20, s[8:9] offset:104
	global_load_b128 v[16:19], v20, s[8:9] offset:136
	;; [unrolled: 1-line block ×3, first 2 shown]
	v_and_b32_e32 v26, 0xffff, v26
	s_wait_loadcnt 0x2
	v_mul_f32_e32 v38, v25, v15
	s_wait_loadcnt 0x1
	v_mul_f32_e32 v29, v7, v19
	;; [unrolled: 2-line block ×3, first 2 shown]
	v_mul_f32_e32 v23, v2, v23
	v_mad_u32_u24 v26, 0x5b0, v26, 0
	s_delay_alu instid0(VALU_DEP_3) | instskip(SKIP_4) | instid1(VALU_DEP_3)
	v_fma_f32 v2, v2, v22, -v36
	v_mul_f32_e32 v39, v5, v17
	v_mul_f32_e32 v17, v4, v17
	v_fmac_f32_e32 v23, v3, v22
	v_mul_f32_e32 v15, v24, v15
	v_fmac_f32_e32 v17, v5, v16
	s_delay_alu instid0(VALU_DEP_2) | instskip(SKIP_1) | instid1(VALU_DEP_1)
	v_fmac_f32_e32 v15, v25, v14
	v_lshlrev_b32_e32 v27, 3, v27
	v_add3_u32 v26, v26, v27, v42
	v_mul_f32_e32 v27, v11, v13
	v_mul_f32_e32 v13, v10, v13
	v_fma_f32 v24, v24, v14, -v38
	v_mul_f32_e32 v19, v6, v19
	v_fma_f32 v6, v6, v18, -v29
	v_fma_f32 v10, v10, v12, -v27
	v_mul_f32_e32 v37, v1, v21
	v_fmac_f32_e32 v13, v11, v12
	v_mul_f32_e32 v21, v0, v21
	s_delay_alu instid0(VALU_DEP_1) | instskip(SKIP_3) | instid1(VALU_DEP_1)
	v_dual_add_f32 v12, v15, v17 :: v_dual_fmac_f32 v21, v1, v20
	v_sub_f32_e32 v1, v10, v6
	v_add_f32_e32 v6, v10, v6
	v_fma_f32 v0, v0, v20, -v37
	v_dual_sub_f32 v3, v2, v0 :: v_dual_add_f32 v0, v0, v2
	v_fma_f32 v4, v4, v16, -v39
	s_delay_alu instid0(VALU_DEP_1) | instskip(SKIP_1) | instid1(VALU_DEP_2)
	v_dual_add_f32 v2, v24, v4 :: v_dual_fmac_f32 v19, v7, v18
	v_sub_f32_e32 v5, v24, v4
	v_dual_sub_f32 v20, v0, v2 :: v_dual_add_f32 v7, v13, v19
	s_delay_alu instid0(VALU_DEP_1) | instskip(SKIP_2) | instid1(VALU_DEP_1)
	v_add_f32_e32 v18, v12, v7
	v_sub_f32_e32 v4, v13, v19
	v_add_f32_e32 v11, v21, v23
	v_dual_sub_f32 v19, v6, v0 :: v_dual_sub_f32 v16, v7, v11
	v_dual_sub_f32 v10, v23, v21 :: v_dual_add_f32 v21, v2, v6
	v_dual_sub_f32 v2, v2, v6 :: v_dual_sub_f32 v13, v15, v17
	s_delay_alu instid0(VALU_DEP_1)
	v_dual_sub_f32 v22, v4, v10 :: v_dual_sub_f32 v23, v10, v13
	v_add_f32_e32 v10, v10, v13
	v_sub_f32_e32 v6, v13, v4
	v_dual_mul_f32 v13, 0x3f4a47b2, v16 :: v_dual_mul_f32 v16, 0x3f4a47b2, v19
	v_add_f32_e32 v19, v0, v21
	v_mul_f32_e32 v21, 0xbf08b237, v23
	v_dual_sub_f32 v15, v3, v5 :: v_dual_add_f32 v4, v10, v4
	v_sub_f32_e32 v17, v11, v12
	v_dual_add_f32 v11, v11, v18 :: v_dual_mul_f32 v18, 0x3d64c772, v20
	v_mul_f32_e32 v23, 0x3f5ff5aa, v6
	v_fma_f32 v6, 0x3f5ff5aa, v6, -v21
	v_sub_f32_e32 v7, v12, v7
	v_mul_f32_e32 v12, 0xbf08b237, v15
	v_sub_f32_e32 v14, v1, v3
	v_add_f32_e32 v0, v8, v19
	v_fmac_f32_e32 v6, 0x3ee1c552, v4
	v_fma_f32 v8, 0xbf3bfb3b, v7, -v13
	s_delay_alu instid0(VALU_DEP_4) | instskip(NEXT) | instid1(VALU_DEP_1)
	v_dual_fmamk_f32 v24, v14, 0x3eae86e6, v12 :: v_dual_add_f32 v3, v3, v5
	v_add_f32_e32 v3, v3, v1
	v_sub_f32_e32 v5, v5, v1
	v_add_f32_e32 v1, v9, v11
	s_delay_alu instid0(VALU_DEP_2) | instskip(NEXT) | instid1(VALU_DEP_1)
	v_fma_f32 v12, 0x3f5ff5aa, v5, -v12
	v_fmac_f32_e32 v12, 0x3ee1c552, v3
	v_mul_f32_e32 v10, 0x3f5ff5aa, v5
	s_delay_alu instid0(VALU_DEP_4)
	v_fmamk_f32 v5, v11, 0xbf955555, v1
	v_fmamk_f32 v11, v19, 0xbf955555, v0
	v_mul_f32_e32 v15, 0x3d64c772, v17
	v_fmamk_f32 v17, v17, 0x3d64c772, v13
	v_fma_f32 v13, 0xbf3bfb3b, v2, -v16
	v_fma_f32 v2, 0x3f3bfb3b, v2, -v18
	;; [unrolled: 1-line block ×3, first 2 shown]
	s_delay_alu instid0(VALU_DEP_3) | instskip(SKIP_1) | instid1(VALU_DEP_4)
	v_add_f32_e32 v18, v13, v11
	v_fma_f32 v7, 0x3f3bfb3b, v7, -v15
	v_dual_add_f32 v2, v2, v11 :: v_dual_fmamk_f32 v9, v20, 0x3d64c772, v16
	v_dual_fmamk_f32 v20, v22, 0x3eae86e6, v21 :: v_dual_add_f32 v15, v17, v5
	v_add_f32_e32 v17, v8, v5
	s_delay_alu instid0(VALU_DEP_4) | instskip(NEXT) | instid1(VALU_DEP_4)
	v_add_f32_e32 v8, v7, v5
	v_add_f32_e32 v16, v9, v11
	s_delay_alu instid0(VALU_DEP_4) | instskip(SKIP_1) | instid1(VALU_DEP_4)
	v_fmac_f32_e32 v20, 0x3ee1c552, v4
	v_fmac_f32_e32 v24, 0x3ee1c552, v3
	v_dual_fmac_f32 v10, 0x3ee1c552, v3 :: v_dual_sub_f32 v7, v8, v12
	v_dual_add_f32 v9, v12, v8 :: v_dual_sub_f32 v8, v2, v6
	v_add_f32_e32 v6, v6, v2
	v_sub_f32_e32 v2, v16, v20
	v_fma_f32 v14, 0xbeae86e6, v22, -v23
	v_sub_f32_e32 v13, v15, v24
	v_dual_add_f32 v12, v20, v16 :: v_dual_add_f32 v5, v10, v17
	s_delay_alu instid0(VALU_DEP_3) | instskip(NEXT) | instid1(VALU_DEP_1)
	v_dual_sub_f32 v11, v17, v10 :: v_dual_fmac_f32 v14, 0x3ee1c552, v4
	v_dual_add_f32 v3, v24, v15 :: v_dual_add_f32 v10, v14, v18
	v_sub_f32_e32 v4, v18, v14
	ds_store_2addr_b64 v26, v[0:1], v[12:13] offset1:26
	ds_store_2addr_b64 v26, v[10:11], v[8:9] offset0:52 offset1:78
	ds_store_2addr_b64 v26, v[6:7], v[4:5] offset0:104 offset1:130
	ds_store_b64 v26, v[2:3] offset:1248
.LBB0_25:
	s_wait_alu 0xfffe
	s_or_b32 exec_lo, exec_lo, s1
	v_dual_mov_b32 v1, 0 :: v_dual_lshlrev_b32 v0, 2, v32
	global_wb scope:SCOPE_SE
	s_wait_dscnt 0x0
	s_barrier_signal -1
	s_barrier_wait -1
	global_inv scope:SCOPE_SE
	v_lshlrev_b64_e32 v[2:3], 3, v[0:1]
	s_delay_alu instid0(VALU_DEP_1) | instskip(SKIP_1) | instid1(VALU_DEP_2)
	v_add_co_u32 v6, s0, s8, v2
	s_wait_alu 0xf1ff
	v_add_co_ci_u32_e64 v7, s0, s9, v3, s0
	global_load_b128 v[2:5], v[6:7], off offset:1352
	v_lshlrev_b32_e32 v0, 2, v28
	global_load_b128 v[6:9], v[6:7], off offset:1368
	v_add_nc_u32_e32 v26, 0xc00, v33
	v_add_nc_u32_e32 v45, 0x1000, v33
	v_lshlrev_b64_e32 v[10:11], 3, v[0:1]
	s_delay_alu instid0(VALU_DEP_1) | instskip(SKIP_1) | instid1(VALU_DEP_2)
	v_add_co_u32 v14, s0, s8, v10
	s_wait_alu 0xf1ff
	v_add_co_ci_u32_e64 v15, s0, s9, v11, s0
	s_clause 0x1
	global_load_b128 v[10:13], v[14:15], off offset:1352
	global_load_b128 v[14:17], v[14:15], off offset:1368
	ds_load_2addr_b64 v[18:21], v33 offset0:91 offset1:182
	v_add_nc_u32_e32 v0, 0x800, v33
	s_wait_loadcnt_dscnt 0x300
	v_mul_f32_e32 v48, v3, v21
	v_mul_f32_e32 v3, v3, v20
	ds_load_2addr_b64 v[22:25], v0 offset0:17 offset1:108
	ds_load_2addr_b64 v[26:29], v26 offset0:71 offset1:162
	;; [unrolled: 1-line block ×3, first 2 shown]
	ds_load_b64 v[41:42], v41
	ds_load_b64 v[43:44], v33 offset:6552
	v_add_nc_u32_e32 v46, 0x400, v33
	global_wb scope:SCOPE_SE
	s_wait_loadcnt_dscnt 0x0
	s_barrier_signal -1
	v_fmac_f32_e32 v3, v2, v21
	s_barrier_wait -1
	global_inv scope:SCOPE_SE
	v_mul_f32_e32 v49, v5, v25
	v_dual_mul_f32 v5, v5, v24 :: v_dual_mul_f32 v50, v7, v29
	v_mul_f32_e32 v21, v37, v15
	v_mul_f32_e32 v7, v7, v28
	;; [unrolled: 1-line block ×3, first 2 shown]
	v_dual_mul_f32 v52, v9, v38 :: v_dual_add_nc_u32 v47, 0x1200, v33
	v_fma_f32 v9, v2, v20, -v48
	v_fma_f32 v2, v4, v24, -v49
	v_fmac_f32_e32 v5, v4, v25
	v_fma_f32 v4, v6, v28, -v50
	v_fma_f32 v20, v8, v38, -v51
	v_fmac_f32_e32 v52, v8, v39
	v_dual_mul_f32 v8, v11, v22 :: v_dual_fmac_f32 v7, v6, v29
	v_mul_f32_e32 v6, v11, v23
	v_mul_f32_e32 v11, v27, v13
	;; [unrolled: 1-line block ×6, first 2 shown]
	v_fma_f32 v6, v10, v22, -v6
	v_fmac_f32_e32 v8, v10, v23
	v_fma_f32 v10, v26, v12, -v11
	v_fmac_f32_e32 v13, v27, v12
	v_fma_f32 v12, v36, v14, -v21
	v_dual_fmac_f32 v15, v37, v14 :: v_dual_sub_f32 v26, v2, v9
	v_fma_f32 v21, v43, v16, -v24
	v_add_f32_e32 v14, v2, v4
	v_sub_f32_e32 v24, v20, v4
	v_dual_fmac_f32 v17, v44, v16 :: v_dual_add_f32 v28, v42, v3
	v_dual_sub_f32 v16, v3, v52 :: v_dual_add_f32 v11, v41, v9
	v_dual_sub_f32 v38, v52, v7 :: v_dual_sub_f32 v23, v9, v2
	v_sub_f32_e32 v44, v7, v52
	v_sub_f32_e32 v37, v2, v4
	v_add_f32_e32 v39, v3, v52
	v_sub_f32_e32 v27, v4, v20
	v_add_f32_e32 v25, v9, v20
	;; [unrolled: 2-line block ×3, first 2 shown]
	v_fma_f32 v2, -0.5, v14, v41
	v_dual_add_f32 v14, v10, v12 :: v_dual_add_f32 v29, v5, v7
	v_sub_f32_e32 v22, v5, v7
	v_dual_sub_f32 v36, v9, v20 :: v_dual_sub_f32 v9, v3, v5
	v_dual_add_f32 v23, v23, v24 :: v_dual_sub_f32 v50, v6, v21
	s_delay_alu instid0(VALU_DEP_4)
	v_fma_f32 v3, -0.5, v29, v42
	v_fmac_f32_e32 v42, -0.5, v39
	v_add_f32_e32 v24, v26, v27
	v_fma_f32 v41, -0.5, v25, v41
	v_dual_add_f32 v5, v28, v5 :: v_dual_add_f32 v48, v19, v8
	v_dual_add_f32 v25, v9, v38 :: v_dual_add_f32 v26, v43, v44
	v_dual_add_f32 v9, v18, v6 :: v_dual_sub_f32 v54, v17, v15
	v_dual_sub_f32 v28, v13, v15 :: v_dual_sub_f32 v29, v6, v10
	s_delay_alu instid0(VALU_DEP_4)
	v_dual_add_f32 v39, v6, v21 :: v_dual_add_f32 v58, v5, v7
	v_sub_f32_e32 v43, v10, v6
	v_dual_add_f32 v49, v13, v15 :: v_dual_fmamk_f32 v6, v22, 0xbf737871, v41
	v_add_f32_e32 v59, v9, v10
	v_dual_sub_f32 v27, v8, v17 :: v_dual_sub_f32 v56, v13, v8
	v_sub_f32_e32 v38, v21, v12
	s_delay_alu instid0(VALU_DEP_4)
	v_fmac_f32_e32 v6, 0x3f167918, v16
	v_dual_fmac_f32 v41, 0x3f737871, v22 :: v_dual_sub_f32 v44, v12, v21
	v_add_f32_e32 v11, v11, v4
	v_add_f32_e32 v55, v8, v17
	v_fmamk_f32 v4, v16, 0x3f737871, v2
	v_fmac_f32_e32 v2, 0xbf737871, v16
	v_fmac_f32_e32 v41, 0xbf167918, v16
	v_dual_add_f32 v16, v59, v12 :: v_dual_fmamk_f32 v7, v37, 0x3f737871, v42
	v_fmac_f32_e32 v42, 0xbf737871, v37
	v_sub_f32_e32 v53, v8, v13
	v_fma_f32 v8, -0.5, v14, v18
	v_fma_f32 v18, -0.5, v39, v18
	v_dual_sub_f32 v51, v10, v12 :: v_dual_fmac_f32 v4, 0x3f167918, v22
	v_dual_add_f32 v29, v29, v38 :: v_dual_fmac_f32 v42, 0x3f167918, v36
	v_dual_add_f32 v38, v43, v44 :: v_dual_add_f32 v13, v48, v13
	v_fma_f32 v9, -0.5, v49, v19
	v_dual_add_f32 v39, v53, v54 :: v_dual_fmamk_f32 v14, v28, 0xbf737871, v18
	v_fmamk_f32 v12, v27, 0x3f737871, v8
	v_fmac_f32_e32 v8, 0xbf737871, v27
	v_dual_add_f32 v10, v11, v20 :: v_dual_fmac_f32 v19, -0.5, v55
	v_fmac_f32_e32 v6, 0x3e9e377a, v24
	v_fmac_f32_e32 v18, 0x3f737871, v28
	v_dual_fmamk_f32 v5, v36, 0xbf737871, v3 :: v_dual_add_f32 v20, v13, v15
	v_fmac_f32_e32 v3, 0x3f737871, v36
	v_dual_sub_f32 v57, v15, v17 :: v_dual_fmac_f32 v2, 0xbf167918, v22
	v_fmamk_f32 v13, v50, 0xbf737871, v9
	v_fmamk_f32 v15, v51, 0x3f737871, v19
	v_fmac_f32_e32 v9, 0x3f737871, v50
	v_fmac_f32_e32 v19, 0xbf737871, v51
	v_dual_fmac_f32 v5, 0xbf167918, v37 :: v_dual_fmac_f32 v8, 0xbf167918, v28
	v_dual_add_f32 v16, v16, v21 :: v_dual_fmac_f32 v7, 0xbf167918, v36
	v_dual_fmac_f32 v3, 0x3f167918, v37 :: v_dual_fmac_f32 v12, 0x3f167918, v28
	v_dual_add_f32 v43, v56, v57 :: v_dual_fmac_f32 v4, 0x3e9e377a, v23
	v_dual_fmac_f32 v14, 0x3f167918, v27 :: v_dual_add_f32 v17, v20, v17
	v_fmac_f32_e32 v13, 0xbf167918, v51
	v_dual_fmac_f32 v15, 0xbf167918, v50 :: v_dual_fmac_f32 v18, 0xbf167918, v27
	v_fmac_f32_e32 v9, 0x3f167918, v51
	v_fmac_f32_e32 v19, 0x3f167918, v50
	v_dual_fmac_f32 v5, 0x3e9e377a, v25 :: v_dual_fmac_f32 v14, 0x3e9e377a, v38
	v_dual_fmac_f32 v7, 0x3e9e377a, v26 :: v_dual_fmac_f32 v12, 0x3e9e377a, v29
	v_dual_add_f32 v11, v58, v52 :: v_dual_fmac_f32 v2, 0x3e9e377a, v23
	v_dual_fmac_f32 v41, 0x3e9e377a, v24 :: v_dual_fmac_f32 v42, 0x3e9e377a, v26
	v_dual_fmac_f32 v3, 0x3e9e377a, v25 :: v_dual_fmac_f32 v18, 0x3e9e377a, v38
	;; [unrolled: 1-line block ×3, first 2 shown]
	v_fmac_f32_e32 v15, 0x3e9e377a, v43
	v_fmac_f32_e32 v9, 0x3e9e377a, v39
	;; [unrolled: 1-line block ×3, first 2 shown]
	ds_store_2addr_b64 v46, v[4:5], v[6:7] offset0:54 offset1:236
	ds_store_2addr_b64 v45, v[41:42], v[2:3] offset0:34 offset1:216
	ds_store_2addr_b64 v33, v[10:11], v[16:17] offset1:91
	ds_store_2addr_b64 v0, v[12:13], v[14:15] offset0:17 offset1:199
	ds_store_2addr_b64 v47, v[18:19], v[8:9] offset0:61 offset1:243
	global_wb scope:SCOPE_SE
	s_wait_dscnt 0x0
	s_barrier_signal -1
	s_barrier_wait -1
	global_inv scope:SCOPE_SE
	s_and_saveexec_b32 s0, vcc_lo
	s_cbranch_execz .LBB0_27
; %bb.26:
	v_mul_lo_u32 v0, s3, v34
	v_mul_lo_u32 v2, s2, v35
	v_mad_co_u64_u32 v[6:7], null, s2, v34, 0
	v_lshl_add_u32 v20, v32, 3, v40
	v_mov_b32_e32 v33, v1
	v_lshlrev_b64_e32 v[10:11], 3, v[30:31]
	s_delay_alu instid0(VALU_DEP_3)
	v_add_nc_u32_e32 v8, 0x400, v20
	v_add3_u32 v7, v7, v2, v0
	v_add_nc_u32_e32 v0, 0x5b, v32
	v_lshlrev_b64_e32 v[14:15], 3, v[32:33]
	ds_load_2addr_b64 v[2:5], v20 offset1:91
	v_add_nc_u32_e32 v21, 0x800, v20
	v_lshlrev_b64_e32 v[12:13], 3, v[6:7]
	v_lshlrev_b64_e32 v[16:17], 3, v[0:1]
	v_add_nc_u32_e32 v0, 0xb6, v32
	ds_load_2addr_b64 v[6:9], v8 offset0:54 offset1:145
	v_add_co_u32 v18, vcc_lo, s6, v12
	s_wait_alu 0xfffd
	v_add_co_ci_u32_e32 v19, vcc_lo, s7, v13, vcc_lo
	v_lshlrev_b64_e32 v[12:13], 3, v[0:1]
	s_delay_alu instid0(VALU_DEP_3) | instskip(SKIP_1) | instid1(VALU_DEP_3)
	v_add_co_u32 v24, vcc_lo, v18, v10
	s_wait_alu 0xfffd
	v_add_co_ci_u32_e32 v25, vcc_lo, v19, v11, vcc_lo
	v_add_nc_u32_e32 v0, 0x111, v32
	s_delay_alu instid0(VALU_DEP_3) | instskip(SKIP_1) | instid1(VALU_DEP_3)
	v_add_co_u32 v10, vcc_lo, v24, v14
	s_wait_alu 0xfffd
	v_add_co_ci_u32_e32 v11, vcc_lo, v25, v15, vcc_lo
	v_add_co_u32 v14, vcc_lo, v24, v16
	s_wait_alu 0xfffd
	v_add_co_ci_u32_e32 v15, vcc_lo, v25, v17, vcc_lo
	v_lshlrev_b64_e32 v[16:17], 3, v[0:1]
	v_add_nc_u32_e32 v0, 0x16c, v32
	v_add_co_u32 v12, vcc_lo, v24, v12
	s_wait_alu 0xfffd
	v_add_co_ci_u32_e32 v13, vcc_lo, v25, v13, vcc_lo
	s_delay_alu instid0(VALU_DEP_3)
	v_lshlrev_b64_e32 v[18:19], 3, v[0:1]
	v_add_nc_u32_e32 v0, 0x1c7, v32
	v_add_co_u32 v16, vcc_lo, v24, v16
	s_wait_alu 0xfffd
	v_add_co_ci_u32_e32 v17, vcc_lo, v25, v17, vcc_lo
	s_wait_dscnt 0x1
	s_clause 0x1
	global_store_b64 v[10:11], v[2:3], off
	global_store_b64 v[14:15], v[4:5], off
	s_wait_dscnt 0x0
	s_clause 0x1
	global_store_b64 v[12:13], v[6:7], off
	global_store_b64 v[16:17], v[8:9], off
	v_lshlrev_b64_e32 v[6:7], 3, v[0:1]
	v_add_nc_u32_e32 v0, 0x222, v32
	v_add_co_u32 v14, vcc_lo, v24, v18
	v_add_nc_u32_e32 v8, 0x1000, v20
	s_wait_alu 0xfffd
	v_add_co_ci_u32_e32 v15, vcc_lo, v25, v19, vcc_lo
	v_lshlrev_b64_e32 v[10:11], 3, v[0:1]
	v_add_nc_u32_e32 v0, 0x27d, v32
	v_add_co_u32 v16, vcc_lo, v24, v6
	v_add_nc_u32_e32 v12, 0x1400, v20
	ds_load_2addr_b64 v[2:5], v21 offset0:108 offset1:199
	s_wait_alu 0xfffd
	v_add_co_ci_u32_e32 v17, vcc_lo, v25, v7, vcc_lo
	ds_load_2addr_b64 v[6:9], v8 offset0:34 offset1:125
	v_lshlrev_b64_e32 v[18:19], 3, v[0:1]
	v_add_nc_u32_e32 v0, 0x2d8, v32
	v_add_co_u32 v20, vcc_lo, v24, v10
	s_wait_alu 0xfffd
	v_add_co_ci_u32_e32 v21, vcc_lo, v25, v11, vcc_lo
	ds_load_2addr_b64 v[10:13], v12 offset0:88 offset1:179
	v_lshlrev_b64_e32 v[22:23], 3, v[0:1]
	v_add_nc_u32_e32 v0, 0x333, v32
	v_add_co_u32 v18, vcc_lo, v24, v18
	s_wait_alu 0xfffd
	v_add_co_ci_u32_e32 v19, vcc_lo, v25, v19, vcc_lo
	s_delay_alu instid0(VALU_DEP_3) | instskip(SKIP_3) | instid1(VALU_DEP_3)
	v_lshlrev_b64_e32 v[0:1], 3, v[0:1]
	v_add_co_u32 v22, vcc_lo, v24, v22
	s_wait_alu 0xfffd
	v_add_co_ci_u32_e32 v23, vcc_lo, v25, v23, vcc_lo
	v_add_co_u32 v0, vcc_lo, v24, v0
	s_wait_alu 0xfffd
	v_add_co_ci_u32_e32 v1, vcc_lo, v25, v1, vcc_lo
	s_wait_dscnt 0x2
	s_clause 0x1
	global_store_b64 v[14:15], v[2:3], off
	global_store_b64 v[16:17], v[4:5], off
	s_wait_dscnt 0x1
	s_clause 0x1
	global_store_b64 v[20:21], v[6:7], off
	global_store_b64 v[18:19], v[8:9], off
	;; [unrolled: 4-line block ×3, first 2 shown]
.LBB0_27:
	s_nop 0
	s_sendmsg sendmsg(MSG_DEALLOC_VGPRS)
	s_endpgm
	.section	.rodata,"a",@progbits
	.p2align	6, 0x0
	.amdhsa_kernel fft_rtc_fwd_len910_factors_13_2_7_5_wgs_182_tpt_91_sp_op_CI_CI_unitstride_sbrr_C2R_dirReg
		.amdhsa_group_segment_fixed_size 0
		.amdhsa_private_segment_fixed_size 0
		.amdhsa_kernarg_size 104
		.amdhsa_user_sgpr_count 2
		.amdhsa_user_sgpr_dispatch_ptr 0
		.amdhsa_user_sgpr_queue_ptr 0
		.amdhsa_user_sgpr_kernarg_segment_ptr 1
		.amdhsa_user_sgpr_dispatch_id 0
		.amdhsa_user_sgpr_private_segment_size 0
		.amdhsa_wavefront_size32 1
		.amdhsa_uses_dynamic_stack 0
		.amdhsa_enable_private_segment 0
		.amdhsa_system_sgpr_workgroup_id_x 1
		.amdhsa_system_sgpr_workgroup_id_y 0
		.amdhsa_system_sgpr_workgroup_id_z 0
		.amdhsa_system_sgpr_workgroup_info 0
		.amdhsa_system_vgpr_workitem_id 0
		.amdhsa_next_free_vgpr 145
		.amdhsa_next_free_sgpr 39
		.amdhsa_reserve_vcc 1
		.amdhsa_float_round_mode_32 0
		.amdhsa_float_round_mode_16_64 0
		.amdhsa_float_denorm_mode_32 3
		.amdhsa_float_denorm_mode_16_64 3
		.amdhsa_fp16_overflow 0
		.amdhsa_workgroup_processor_mode 1
		.amdhsa_memory_ordered 1
		.amdhsa_forward_progress 0
		.amdhsa_round_robin_scheduling 0
		.amdhsa_exception_fp_ieee_invalid_op 0
		.amdhsa_exception_fp_denorm_src 0
		.amdhsa_exception_fp_ieee_div_zero 0
		.amdhsa_exception_fp_ieee_overflow 0
		.amdhsa_exception_fp_ieee_underflow 0
		.amdhsa_exception_fp_ieee_inexact 0
		.amdhsa_exception_int_div_zero 0
	.end_amdhsa_kernel
	.text
.Lfunc_end0:
	.size	fft_rtc_fwd_len910_factors_13_2_7_5_wgs_182_tpt_91_sp_op_CI_CI_unitstride_sbrr_C2R_dirReg, .Lfunc_end0-fft_rtc_fwd_len910_factors_13_2_7_5_wgs_182_tpt_91_sp_op_CI_CI_unitstride_sbrr_C2R_dirReg
                                        ; -- End function
	.section	.AMDGPU.csdata,"",@progbits
; Kernel info:
; codeLenInByte = 10472
; NumSgprs: 41
; NumVgprs: 145
; ScratchSize: 0
; MemoryBound: 0
; FloatMode: 240
; IeeeMode: 1
; LDSByteSize: 0 bytes/workgroup (compile time only)
; SGPRBlocks: 5
; VGPRBlocks: 18
; NumSGPRsForWavesPerEU: 41
; NumVGPRsForWavesPerEU: 145
; Occupancy: 9
; WaveLimiterHint : 1
; COMPUTE_PGM_RSRC2:SCRATCH_EN: 0
; COMPUTE_PGM_RSRC2:USER_SGPR: 2
; COMPUTE_PGM_RSRC2:TRAP_HANDLER: 0
; COMPUTE_PGM_RSRC2:TGID_X_EN: 1
; COMPUTE_PGM_RSRC2:TGID_Y_EN: 0
; COMPUTE_PGM_RSRC2:TGID_Z_EN: 0
; COMPUTE_PGM_RSRC2:TIDIG_COMP_CNT: 0
	.text
	.p2alignl 7, 3214868480
	.fill 96, 4, 3214868480
	.type	__hip_cuid_253b313ebbf75054,@object ; @__hip_cuid_253b313ebbf75054
	.section	.bss,"aw",@nobits
	.globl	__hip_cuid_253b313ebbf75054
__hip_cuid_253b313ebbf75054:
	.byte	0                               ; 0x0
	.size	__hip_cuid_253b313ebbf75054, 1

	.ident	"AMD clang version 19.0.0git (https://github.com/RadeonOpenCompute/llvm-project roc-6.4.0 25133 c7fe45cf4b819c5991fe208aaa96edf142730f1d)"
	.section	".note.GNU-stack","",@progbits
	.addrsig
	.addrsig_sym __hip_cuid_253b313ebbf75054
	.amdgpu_metadata
---
amdhsa.kernels:
  - .args:
      - .actual_access:  read_only
        .address_space:  global
        .offset:         0
        .size:           8
        .value_kind:     global_buffer
      - .offset:         8
        .size:           8
        .value_kind:     by_value
      - .actual_access:  read_only
        .address_space:  global
        .offset:         16
        .size:           8
        .value_kind:     global_buffer
      - .actual_access:  read_only
        .address_space:  global
        .offset:         24
        .size:           8
        .value_kind:     global_buffer
      - .actual_access:  read_only
        .address_space:  global
        .offset:         32
        .size:           8
        .value_kind:     global_buffer
      - .offset:         40
        .size:           8
        .value_kind:     by_value
      - .actual_access:  read_only
        .address_space:  global
        .offset:         48
        .size:           8
        .value_kind:     global_buffer
      - .actual_access:  read_only
        .address_space:  global
        .offset:         56
        .size:           8
        .value_kind:     global_buffer
      - .offset:         64
        .size:           4
        .value_kind:     by_value
      - .actual_access:  read_only
        .address_space:  global
        .offset:         72
        .size:           8
        .value_kind:     global_buffer
      - .actual_access:  read_only
        .address_space:  global
        .offset:         80
        .size:           8
        .value_kind:     global_buffer
      - .actual_access:  read_only
        .address_space:  global
        .offset:         88
        .size:           8
        .value_kind:     global_buffer
      - .actual_access:  write_only
        .address_space:  global
        .offset:         96
        .size:           8
        .value_kind:     global_buffer
    .group_segment_fixed_size: 0
    .kernarg_segment_align: 8
    .kernarg_segment_size: 104
    .language:       OpenCL C
    .language_version:
      - 2
      - 0
    .max_flat_workgroup_size: 182
    .name:           fft_rtc_fwd_len910_factors_13_2_7_5_wgs_182_tpt_91_sp_op_CI_CI_unitstride_sbrr_C2R_dirReg
    .private_segment_fixed_size: 0
    .sgpr_count:     41
    .sgpr_spill_count: 0
    .symbol:         fft_rtc_fwd_len910_factors_13_2_7_5_wgs_182_tpt_91_sp_op_CI_CI_unitstride_sbrr_C2R_dirReg.kd
    .uniform_work_group_size: 1
    .uses_dynamic_stack: false
    .vgpr_count:     145
    .vgpr_spill_count: 0
    .wavefront_size: 32
    .workgroup_processor_mode: 1
amdhsa.target:   amdgcn-amd-amdhsa--gfx1201
amdhsa.version:
  - 1
  - 2
...

	.end_amdgpu_metadata
